;; amdgpu-corpus repo=ROCm/rocFFT kind=compiled arch=gfx1201 opt=O3
	.text
	.amdgcn_target "amdgcn-amd-amdhsa--gfx1201"
	.amdhsa_code_object_version 6
	.protected	fft_rtc_fwd_len2197_factors_13_13_13_wgs_169_tpt_169_halfLds_dp_ip_CI_sbrr_dirReg ; -- Begin function fft_rtc_fwd_len2197_factors_13_13_13_wgs_169_tpt_169_halfLds_dp_ip_CI_sbrr_dirReg
	.globl	fft_rtc_fwd_len2197_factors_13_13_13_wgs_169_tpt_169_halfLds_dp_ip_CI_sbrr_dirReg
	.p2align	8
	.type	fft_rtc_fwd_len2197_factors_13_13_13_wgs_169_tpt_169_halfLds_dp_ip_CI_sbrr_dirReg,@function
fft_rtc_fwd_len2197_factors_13_13_13_wgs_169_tpt_169_halfLds_dp_ip_CI_sbrr_dirReg: ; @fft_rtc_fwd_len2197_factors_13_13_13_wgs_169_tpt_169_halfLds_dp_ip_CI_sbrr_dirReg
; %bb.0:
	s_clause 0x2
	s_load_b64 s[12:13], s[0:1], 0x18
	s_load_b128 s[4:7], s[0:1], 0x0
	s_load_b64 s[10:11], s[0:1], 0x50
	v_mul_u32_u24_e32 v1, 0x184, v0
	v_mov_b32_e32 v3, 0
	s_delay_alu instid0(VALU_DEP_2) | instskip(NEXT) | instid1(VALU_DEP_1)
	v_lshrrev_b32_e32 v1, 16, v1
	v_add_nc_u32_e32 v5, ttmp9, v1
	v_mov_b32_e32 v1, 0
	v_mov_b32_e32 v2, 0
	;; [unrolled: 1-line block ×3, first 2 shown]
	s_wait_kmcnt 0x0
	s_load_b64 s[8:9], s[12:13], 0x0
	v_cmp_lt_u64_e64 s2, s[6:7], 2
	s_delay_alu instid0(VALU_DEP_1)
	s_and_b32 vcc_lo, exec_lo, s2
	s_cbranch_vccnz .LBB0_8
; %bb.1:
	s_load_b64 s[2:3], s[0:1], 0x10
	v_mov_b32_e32 v1, 0
	v_mov_b32_e32 v2, 0
	s_add_nc_u64 s[14:15], s[12:13], 8
	s_mov_b64 s[16:17], 1
	s_wait_kmcnt 0x0
	s_add_nc_u64 s[18:19], s[2:3], 8
	s_mov_b32 s3, 0
.LBB0_2:                                ; =>This Inner Loop Header: Depth=1
	s_load_b64 s[20:21], s[18:19], 0x0
                                        ; implicit-def: $vgpr7_vgpr8
	s_mov_b32 s2, exec_lo
	s_wait_kmcnt 0x0
	v_or_b32_e32 v4, s21, v6
	s_delay_alu instid0(VALU_DEP_1)
	v_cmpx_ne_u64_e32 0, v[3:4]
	s_wait_alu 0xfffe
	s_xor_b32 s22, exec_lo, s2
	s_cbranch_execz .LBB0_4
; %bb.3:                                ;   in Loop: Header=BB0_2 Depth=1
	s_cvt_f32_u32 s2, s20
	s_cvt_f32_u32 s23, s21
	s_sub_nc_u64 s[26:27], 0, s[20:21]
	s_wait_alu 0xfffe
	s_delay_alu instid0(SALU_CYCLE_1) | instskip(SKIP_1) | instid1(SALU_CYCLE_2)
	s_fmamk_f32 s2, s23, 0x4f800000, s2
	s_wait_alu 0xfffe
	v_s_rcp_f32 s2, s2
	s_delay_alu instid0(TRANS32_DEP_1) | instskip(SKIP_1) | instid1(SALU_CYCLE_2)
	s_mul_f32 s2, s2, 0x5f7ffffc
	s_wait_alu 0xfffe
	s_mul_f32 s23, s2, 0x2f800000
	s_wait_alu 0xfffe
	s_delay_alu instid0(SALU_CYCLE_2) | instskip(SKIP_1) | instid1(SALU_CYCLE_2)
	s_trunc_f32 s23, s23
	s_wait_alu 0xfffe
	s_fmamk_f32 s2, s23, 0xcf800000, s2
	s_cvt_u32_f32 s25, s23
	s_wait_alu 0xfffe
	s_delay_alu instid0(SALU_CYCLE_1) | instskip(SKIP_1) | instid1(SALU_CYCLE_2)
	s_cvt_u32_f32 s24, s2
	s_wait_alu 0xfffe
	s_mul_u64 s[28:29], s[26:27], s[24:25]
	s_wait_alu 0xfffe
	s_mul_hi_u32 s31, s24, s29
	s_mul_i32 s30, s24, s29
	s_mul_hi_u32 s2, s24, s28
	s_mul_i32 s33, s25, s28
	s_wait_alu 0xfffe
	s_add_nc_u64 s[30:31], s[2:3], s[30:31]
	s_mul_hi_u32 s23, s25, s28
	s_mul_hi_u32 s34, s25, s29
	s_add_co_u32 s2, s30, s33
	s_wait_alu 0xfffe
	s_add_co_ci_u32 s2, s31, s23
	s_mul_i32 s28, s25, s29
	s_add_co_ci_u32 s29, s34, 0
	s_wait_alu 0xfffe
	s_add_nc_u64 s[28:29], s[2:3], s[28:29]
	s_wait_alu 0xfffe
	v_add_co_u32 v4, s2, s24, s28
	s_delay_alu instid0(VALU_DEP_1) | instskip(SKIP_1) | instid1(VALU_DEP_1)
	s_cmp_lg_u32 s2, 0
	s_add_co_ci_u32 s25, s25, s29
	v_readfirstlane_b32 s24, v4
	s_wait_alu 0xfffe
	s_delay_alu instid0(VALU_DEP_1)
	s_mul_u64 s[26:27], s[26:27], s[24:25]
	s_wait_alu 0xfffe
	s_mul_hi_u32 s29, s24, s27
	s_mul_i32 s28, s24, s27
	s_mul_hi_u32 s2, s24, s26
	s_mul_i32 s30, s25, s26
	s_wait_alu 0xfffe
	s_add_nc_u64 s[28:29], s[2:3], s[28:29]
	s_mul_hi_u32 s23, s25, s26
	s_mul_hi_u32 s24, s25, s27
	s_wait_alu 0xfffe
	s_add_co_u32 s2, s28, s30
	s_add_co_ci_u32 s2, s29, s23
	s_mul_i32 s26, s25, s27
	s_add_co_ci_u32 s27, s24, 0
	s_wait_alu 0xfffe
	s_add_nc_u64 s[26:27], s[2:3], s[26:27]
	s_wait_alu 0xfffe
	v_add_co_u32 v4, s2, v4, s26
	s_delay_alu instid0(VALU_DEP_1) | instskip(SKIP_1) | instid1(VALU_DEP_1)
	s_cmp_lg_u32 s2, 0
	s_add_co_ci_u32 s2, s25, s27
	v_mul_hi_u32 v13, v5, v4
	s_wait_alu 0xfffe
	v_mad_co_u64_u32 v[7:8], null, v5, s2, 0
	v_mad_co_u64_u32 v[9:10], null, v6, v4, 0
	;; [unrolled: 1-line block ×3, first 2 shown]
	s_delay_alu instid0(VALU_DEP_3) | instskip(SKIP_1) | instid1(VALU_DEP_4)
	v_add_co_u32 v4, vcc_lo, v13, v7
	s_wait_alu 0xfffd
	v_add_co_ci_u32_e32 v7, vcc_lo, 0, v8, vcc_lo
	s_delay_alu instid0(VALU_DEP_2) | instskip(SKIP_1) | instid1(VALU_DEP_2)
	v_add_co_u32 v4, vcc_lo, v4, v9
	s_wait_alu 0xfffd
	v_add_co_ci_u32_e32 v4, vcc_lo, v7, v10, vcc_lo
	s_wait_alu 0xfffd
	v_add_co_ci_u32_e32 v7, vcc_lo, 0, v12, vcc_lo
	s_delay_alu instid0(VALU_DEP_2) | instskip(SKIP_1) | instid1(VALU_DEP_2)
	v_add_co_u32 v4, vcc_lo, v4, v11
	s_wait_alu 0xfffd
	v_add_co_ci_u32_e32 v9, vcc_lo, 0, v7, vcc_lo
	s_delay_alu instid0(VALU_DEP_2) | instskip(SKIP_1) | instid1(VALU_DEP_3)
	v_mul_lo_u32 v10, s21, v4
	v_mad_co_u64_u32 v[7:8], null, s20, v4, 0
	v_mul_lo_u32 v11, s20, v9
	s_delay_alu instid0(VALU_DEP_2) | instskip(NEXT) | instid1(VALU_DEP_2)
	v_sub_co_u32 v7, vcc_lo, v5, v7
	v_add3_u32 v8, v8, v11, v10
	s_delay_alu instid0(VALU_DEP_1) | instskip(SKIP_1) | instid1(VALU_DEP_1)
	v_sub_nc_u32_e32 v10, v6, v8
	s_wait_alu 0xfffd
	v_subrev_co_ci_u32_e64 v10, s2, s21, v10, vcc_lo
	v_add_co_u32 v11, s2, v4, 2
	s_wait_alu 0xf1ff
	v_add_co_ci_u32_e64 v12, s2, 0, v9, s2
	v_sub_co_u32 v13, s2, v7, s20
	v_sub_co_ci_u32_e32 v8, vcc_lo, v6, v8, vcc_lo
	s_wait_alu 0xf1ff
	v_subrev_co_ci_u32_e64 v10, s2, 0, v10, s2
	s_delay_alu instid0(VALU_DEP_3) | instskip(NEXT) | instid1(VALU_DEP_3)
	v_cmp_le_u32_e32 vcc_lo, s20, v13
	v_cmp_eq_u32_e64 s2, s21, v8
	s_wait_alu 0xfffd
	v_cndmask_b32_e64 v13, 0, -1, vcc_lo
	v_cmp_le_u32_e32 vcc_lo, s21, v10
	s_wait_alu 0xfffd
	v_cndmask_b32_e64 v14, 0, -1, vcc_lo
	v_cmp_le_u32_e32 vcc_lo, s20, v7
	;; [unrolled: 3-line block ×3, first 2 shown]
	s_wait_alu 0xfffd
	v_cndmask_b32_e64 v15, 0, -1, vcc_lo
	v_cmp_eq_u32_e32 vcc_lo, s21, v10
	s_wait_alu 0xf1ff
	s_delay_alu instid0(VALU_DEP_2)
	v_cndmask_b32_e64 v7, v15, v7, s2
	s_wait_alu 0xfffd
	v_cndmask_b32_e32 v10, v14, v13, vcc_lo
	v_add_co_u32 v13, vcc_lo, v4, 1
	s_wait_alu 0xfffd
	v_add_co_ci_u32_e32 v14, vcc_lo, 0, v9, vcc_lo
	s_delay_alu instid0(VALU_DEP_3) | instskip(SKIP_2) | instid1(VALU_DEP_3)
	v_cmp_ne_u32_e32 vcc_lo, 0, v10
	s_wait_alu 0xfffd
	v_cndmask_b32_e32 v10, v13, v11, vcc_lo
	v_cndmask_b32_e32 v8, v14, v12, vcc_lo
	v_cmp_ne_u32_e32 vcc_lo, 0, v7
	s_wait_alu 0xfffd
	s_delay_alu instid0(VALU_DEP_2)
	v_dual_cndmask_b32 v7, v4, v10 :: v_dual_cndmask_b32 v8, v9, v8
.LBB0_4:                                ;   in Loop: Header=BB0_2 Depth=1
	s_wait_alu 0xfffe
	s_and_not1_saveexec_b32 s2, s22
	s_cbranch_execz .LBB0_6
; %bb.5:                                ;   in Loop: Header=BB0_2 Depth=1
	v_cvt_f32_u32_e32 v4, s20
	s_sub_co_i32 s22, 0, s20
	s_delay_alu instid0(VALU_DEP_1) | instskip(NEXT) | instid1(TRANS32_DEP_1)
	v_rcp_iflag_f32_e32 v4, v4
	v_mul_f32_e32 v4, 0x4f7ffffe, v4
	s_delay_alu instid0(VALU_DEP_1) | instskip(SKIP_1) | instid1(VALU_DEP_1)
	v_cvt_u32_f32_e32 v4, v4
	s_wait_alu 0xfffe
	v_mul_lo_u32 v7, s22, v4
	s_delay_alu instid0(VALU_DEP_1) | instskip(NEXT) | instid1(VALU_DEP_1)
	v_mul_hi_u32 v7, v4, v7
	v_add_nc_u32_e32 v4, v4, v7
	s_delay_alu instid0(VALU_DEP_1) | instskip(NEXT) | instid1(VALU_DEP_1)
	v_mul_hi_u32 v4, v5, v4
	v_mul_lo_u32 v7, v4, s20
	v_add_nc_u32_e32 v8, 1, v4
	s_delay_alu instid0(VALU_DEP_2) | instskip(NEXT) | instid1(VALU_DEP_1)
	v_sub_nc_u32_e32 v7, v5, v7
	v_subrev_nc_u32_e32 v9, s20, v7
	v_cmp_le_u32_e32 vcc_lo, s20, v7
	s_wait_alu 0xfffd
	s_delay_alu instid0(VALU_DEP_2) | instskip(NEXT) | instid1(VALU_DEP_1)
	v_dual_cndmask_b32 v7, v7, v9 :: v_dual_cndmask_b32 v4, v4, v8
	v_cmp_le_u32_e32 vcc_lo, s20, v7
	s_delay_alu instid0(VALU_DEP_2) | instskip(SKIP_1) | instid1(VALU_DEP_1)
	v_add_nc_u32_e32 v8, 1, v4
	s_wait_alu 0xfffd
	v_dual_cndmask_b32 v7, v4, v8 :: v_dual_mov_b32 v8, v3
.LBB0_6:                                ;   in Loop: Header=BB0_2 Depth=1
	s_wait_alu 0xfffe
	s_or_b32 exec_lo, exec_lo, s2
	s_load_b64 s[22:23], s[14:15], 0x0
	s_delay_alu instid0(VALU_DEP_1)
	v_mul_lo_u32 v4, v8, s20
	v_mul_lo_u32 v11, v7, s21
	v_mad_co_u64_u32 v[9:10], null, v7, s20, 0
	s_add_nc_u64 s[16:17], s[16:17], 1
	s_add_nc_u64 s[14:15], s[14:15], 8
	s_wait_alu 0xfffe
	v_cmp_ge_u64_e64 s2, s[16:17], s[6:7]
	s_add_nc_u64 s[18:19], s[18:19], 8
	s_delay_alu instid0(VALU_DEP_2) | instskip(NEXT) | instid1(VALU_DEP_3)
	v_add3_u32 v4, v10, v11, v4
	v_sub_co_u32 v5, vcc_lo, v5, v9
	s_wait_alu 0xfffd
	s_delay_alu instid0(VALU_DEP_2) | instskip(SKIP_3) | instid1(VALU_DEP_2)
	v_sub_co_ci_u32_e32 v4, vcc_lo, v6, v4, vcc_lo
	s_and_b32 vcc_lo, exec_lo, s2
	s_wait_kmcnt 0x0
	v_mul_lo_u32 v6, s23, v5
	v_mul_lo_u32 v4, s22, v4
	v_mad_co_u64_u32 v[1:2], null, s22, v5, v[1:2]
	s_delay_alu instid0(VALU_DEP_1)
	v_add3_u32 v2, v6, v2, v4
	s_wait_alu 0xfffe
	s_cbranch_vccnz .LBB0_9
; %bb.7:                                ;   in Loop: Header=BB0_2 Depth=1
	v_dual_mov_b32 v5, v7 :: v_dual_mov_b32 v6, v8
	s_branch .LBB0_2
.LBB0_8:
	v_dual_mov_b32 v8, v6 :: v_dual_mov_b32 v7, v5
.LBB0_9:
	s_lshl_b64 s[2:3], s[6:7], 3
	v_mul_hi_u32 v3, 0x183c978, v0
	s_wait_alu 0xfffe
	s_add_nc_u64 s[2:3], s[12:13], s[2:3]
	v_mov_b32_e32 v100, 0
	s_load_b64 s[2:3], s[2:3], 0x0
	s_load_b64 s[0:1], s[0:1], 0x20
                                        ; implicit-def: $vgpr10_vgpr11
                                        ; implicit-def: $vgpr34_vgpr35
                                        ; implicit-def: $vgpr46_vgpr47
                                        ; implicit-def: $vgpr50_vgpr51
                                        ; implicit-def: $vgpr38_vgpr39
                                        ; implicit-def: $vgpr42_vgpr43
                                        ; implicit-def: $vgpr30_vgpr31
                                        ; implicit-def: $vgpr26_vgpr27
                                        ; implicit-def: $vgpr18_vgpr19
                                        ; implicit-def: $vgpr22_vgpr23
                                        ; implicit-def: $vgpr14_vgpr15
	s_delay_alu instid0(VALU_DEP_2) | instskip(NEXT) | instid1(VALU_DEP_1)
	v_mul_u32_u24_e32 v3, 0xa9, v3
	v_sub_nc_u32_e32 v101, v0, v3
	s_wait_kmcnt 0x0
	v_mul_lo_u32 v4, s2, v8
	v_mul_lo_u32 v5, s3, v7
	v_mad_co_u64_u32 v[1:2], null, s2, v7, v[1:2]
	v_cmp_gt_u64_e32 vcc_lo, s[0:1], v[7:8]
                                        ; implicit-def: $vgpr6_vgpr7
	s_delay_alu instid0(VALU_DEP_2) | instskip(NEXT) | instid1(VALU_DEP_1)
	v_add3_u32 v2, v5, v2, v4
	v_lshlrev_b64_e32 v[52:53], 4, v[1:2]
                                        ; implicit-def: $vgpr2_vgpr3
	s_and_saveexec_b32 s1, vcc_lo
	s_cbranch_execz .LBB0_11
; %bb.10:
	v_add_nc_u32_e32 v9, 0xa9, v101
	v_mad_co_u64_u32 v[0:1], null, s8, v101, 0
	s_delay_alu instid0(VALU_DEP_3) | instskip(NEXT) | instid1(VALU_DEP_3)
	v_add_co_u32 v49, s0, s10, v52
	v_mad_co_u64_u32 v[2:3], null, s8, v9, 0
	v_add_nc_u32_e32 v12, 0x1fb, v101
	s_wait_alu 0xf1ff
	v_add_co_ci_u32_e64 v50, s0, s11, v53, s0
	v_add_nc_u32_e32 v27, 0x49f, v101
	v_add_nc_u32_e32 v51, 0x743, v101
	v_dual_mov_b32 v100, v101 :: v_dual_add_nc_u32 v37, 0x69a, v101
	v_mad_co_u64_u32 v[4:5], null, s9, v101, v[1:2]
	v_mov_b32_e32 v1, v3
	v_mad_co_u64_u32 v[7:8], null, s8, v12, 0
	v_add_nc_u32_e32 v11, 0x152, v101
	v_mad_co_u64_u32 v[32:33], null, s8, v27, 0
	s_delay_alu instid0(VALU_DEP_4) | instskip(NEXT) | instid1(VALU_DEP_3)
	v_mad_co_u64_u32 v[9:10], null, s9, v9, v[1:2]
	v_mad_co_u64_u32 v[5:6], null, s8, v11, 0
	v_dual_mov_b32 v1, v4 :: v_dual_add_nc_u32 v16, 0x2a4, v101
	v_mad_co_u64_u32 v[44:45], null, s8, v51, 0
	s_delay_alu instid0(VALU_DEP_4) | instskip(NEXT) | instid1(VALU_DEP_3)
	v_mov_b32_e32 v3, v9
	v_lshlrev_b64_e32 v[0:1], 4, v[0:1]
	v_mov_b32_e32 v4, v6
	v_mov_b32_e32 v6, v8
	v_mad_co_u64_u32 v[34:35], null, s8, v37, 0
	v_add_nc_u32_e32 v36, 0x5f1, v101
	s_delay_alu instid0(VALU_DEP_4) | instskip(NEXT) | instid1(VALU_DEP_4)
	v_mad_co_u64_u32 v[8:9], null, s9, v11, v[4:5]
	v_mad_co_u64_u32 v[9:10], null, s9, v12, v[6:7]
	v_add_co_u32 v0, s0, v49, v0
	s_wait_alu 0xf1ff
	v_add_co_ci_u32_e64 v1, s0, v50, v1, s0
	s_delay_alu instid0(VALU_DEP_4) | instskip(SKIP_4) | instid1(VALU_DEP_4)
	v_mov_b32_e32 v6, v8
	v_lshlrev_b64_e32 v[2:3], 4, v[2:3]
	v_mad_co_u64_u32 v[10:11], null, s8, v16, 0
	v_dual_mov_b32 v8, v9 :: v_dual_add_nc_u32 v17, 0x34d, v101
	v_add_nc_u32_e32 v54, 0x7ec, v101
	v_add_co_u32 v2, s0, v49, v2
	s_wait_alu 0xf1ff
	v_add_co_ci_u32_e64 v3, s0, v50, v3, s0
	s_clause 0x1
	global_load_b128 v[12:15], v[0:1], off
	global_load_b128 v[20:23], v[2:3], off
	v_lshlrev_b64_e32 v[0:1], 4, v[5:6]
	v_mad_co_u64_u32 v[4:5], null, s8, v17, 0
	v_mov_b32_e32 v2, v11
	v_lshlrev_b64_e32 v[6:7], 4, v[7:8]
	s_delay_alu instid0(VALU_DEP_4) | instskip(NEXT) | instid1(VALU_DEP_3)
	v_add_co_u32 v0, s0, v49, v0
	v_mad_co_u64_u32 v[2:3], null, s9, v16, v[2:3]
	v_dual_mov_b32 v3, v5 :: v_dual_add_nc_u32 v26, 0x3f6, v101
	s_wait_alu 0xf1ff
	v_add_co_ci_u32_e64 v1, s0, v50, v1, s0
	v_add_co_u32 v5, s0, v49, v6
	s_delay_alu instid0(VALU_DEP_4)
	v_mov_b32_e32 v11, v2
	v_mad_co_u64_u32 v[8:9], null, s8, v26, 0
	v_mad_co_u64_u32 v[24:25], null, s9, v17, v[3:4]
	s_wait_alu 0xf1ff
	v_add_co_ci_u32_e64 v6, s0, v50, v7, s0
	s_clause 0x1
	global_load_b128 v[0:3], v[0:1], off
	global_load_b128 v[16:19], v[5:6], off
	v_mov_b32_e32 v7, v9
	v_lshlrev_b64_e32 v[9:10], 4, v[10:11]
	v_mov_b32_e32 v5, v24
	v_add_nc_u32_e32 v11, 0x548, v101
	s_delay_alu instid0(VALU_DEP_4) | instskip(SKIP_1) | instid1(VALU_DEP_4)
	v_mad_co_u64_u32 v[6:7], null, s9, v26, v[7:8]
	v_mov_b32_e32 v7, v33
	v_lshlrev_b64_e32 v[4:5], 4, v[4:5]
	v_add_co_u32 v24, s0, v49, v9
	s_wait_alu 0xf1ff
	v_add_co_ci_u32_e64 v25, s0, v50, v10, s0
	v_mov_b32_e32 v9, v6
	v_mad_co_u64_u32 v[6:7], null, s9, v27, v[7:8]
	v_add_co_u32 v4, s0, v49, v4
	s_delay_alu instid0(VALU_DEP_3)
	v_lshlrev_b64_e32 v[7:8], 4, v[8:9]
	v_mad_co_u64_u32 v[9:10], null, s8, v11, 0
	s_wait_alu 0xf1ff
	v_add_co_ci_u32_e64 v5, s0, v50, v5, s0
	v_mov_b32_e32 v33, v6
	s_clause 0x1
	global_load_b128 v[24:27], v[24:25], off
	global_load_b128 v[28:31], v[4:5], off
	v_add_co_u32 v4, s0, v49, v7
	s_wait_alu 0xf1ff
	v_add_co_ci_u32_e64 v5, s0, v50, v8, s0
	v_lshlrev_b64_e32 v[7:8], 4, v[32:33]
	v_mov_b32_e32 v6, v10
	v_mad_co_u64_u32 v[32:33], null, s8, v36, 0
	s_delay_alu instid0(VALU_DEP_2)
	v_mad_co_u64_u32 v[10:11], null, s9, v11, v[6:7]
	v_add_co_u32 v6, s0, v49, v7
	v_mov_b32_e32 v11, v35
	s_wait_alu 0xf1ff
	v_add_co_ci_u32_e64 v7, s0, v50, v8, s0
	v_mov_b32_e32 v8, v33
	s_delay_alu instid0(VALU_DEP_1) | instskip(NEXT) | instid1(VALU_DEP_1)
	v_mad_co_u64_u32 v[35:36], null, s9, v36, v[8:9]
	v_mov_b32_e32 v33, v35
	s_wait_loadcnt 0x5
	v_mad_co_u64_u32 v[46:47], null, s9, v37, v[11:12]
	v_mad_co_u64_u32 v[47:48], null, s8, v54, 0
	s_clause 0x1
	global_load_b128 v[40:43], v[4:5], off
	global_load_b128 v[36:39], v[6:7], off
	v_lshlrev_b64_e32 v[5:6], 4, v[9:10]
	v_dual_mov_b32 v4, v45 :: v_dual_mov_b32 v35, v46
	s_delay_alu instid0(VALU_DEP_1)
	v_mad_co_u64_u32 v[7:8], null, s9, v51, v[4:5]
	v_mov_b32_e32 v4, v48
	v_add_co_u32 v5, s0, v49, v5
	v_lshlrev_b64_e32 v[8:9], 4, v[32:33]
	v_lshlrev_b64_e32 v[32:33], 4, v[34:35]
	s_wait_alu 0xf1ff
	v_add_co_ci_u32_e64 v6, s0, v50, v6, s0
	v_mad_co_u64_u32 v[10:11], null, s9, v54, v[4:5]
	v_mov_b32_e32 v45, v7
	v_add_co_u32 v7, s0, v49, v8
	s_wait_alu 0xf1ff
	v_add_co_ci_u32_e64 v8, s0, v50, v9, s0
	s_delay_alu instid0(VALU_DEP_3) | instskip(SKIP_4) | instid1(VALU_DEP_3)
	v_lshlrev_b64_e32 v[34:35], 4, v[44:45]
	v_mov_b32_e32 v48, v10
	v_add_co_u32 v9, s0, v49, v32
	s_wait_alu 0xf1ff
	v_add_co_ci_u32_e64 v10, s0, v50, v33, s0
	v_lshlrev_b64_e32 v[32:33], 4, v[47:48]
	v_add_co_u32 v54, s0, v49, v34
	s_wait_alu 0xf1ff
	v_add_co_ci_u32_e64 v55, s0, v50, v35, s0
	s_delay_alu instid0(VALU_DEP_3)
	v_add_co_u32 v56, s0, v49, v32
	s_wait_alu 0xf1ff
	v_add_co_ci_u32_e64 v57, s0, v50, v33, s0
	s_clause 0x4
	global_load_b128 v[48:51], v[5:6], off
	global_load_b128 v[44:47], v[7:8], off
	global_load_b128 v[32:35], v[9:10], off
	global_load_b128 v[8:11], v[54:55], off
	global_load_b128 v[4:7], v[56:57], off
.LBB0_11:
	s_wait_alu 0xfffe
	s_or_b32 exec_lo, exec_lo, s1
	s_wait_loadcnt 0xb
	v_add_f64_e32 v[54:55], v[20:21], v[12:13]
	v_add_f64_e32 v[56:57], v[22:23], v[14:15]
	s_wait_loadcnt 0x4
	v_add_f64_e32 v[62:63], v[48:49], v[28:29]
	v_add_f64_e64 v[64:65], v[30:31], -v[50:51]
	s_mov_b32 s0, 0xe00740e9
	s_mov_b32 s12, 0x1ea71119
	;; [unrolled: 1-line block ×31, first 2 shown]
	s_wait_alu 0xfffe
	s_mov_b32 s38, s24
	s_mov_b32 s26, s34
	;; [unrolled: 1-line block ×3, first 2 shown]
	v_add_f64_e32 v[54:55], v[0:1], v[54:55]
	v_add_f64_e32 v[56:57], v[2:3], v[56:57]
	s_mov_b32 s30, s20
	s_mov_b32 s40, s22
	s_delay_alu instid0(VALU_DEP_2) | instskip(NEXT) | instid1(VALU_DEP_2)
	v_add_f64_e32 v[54:55], v[16:17], v[54:55]
	v_add_f64_e32 v[56:57], v[18:19], v[56:57]
	s_delay_alu instid0(VALU_DEP_2) | instskip(NEXT) | instid1(VALU_DEP_2)
	v_add_f64_e32 v[54:55], v[24:25], v[54:55]
	v_add_f64_e32 v[56:57], v[26:27], v[56:57]
	;; [unrolled: 3-line block ×4, first 2 shown]
	v_add_f64_e32 v[56:57], v[36:37], v[40:41]
	v_add_f64_e64 v[54:55], v[42:43], -v[38:39]
	v_add_f64_e64 v[40:41], v[40:41], -v[36:37]
	v_add_f64_e32 v[42:43], v[38:39], v[42:43]
	v_add_f64_e32 v[58:59], v[36:37], v[58:59]
	;; [unrolled: 1-line block ×4, first 2 shown]
	v_add_f64_e64 v[38:39], v[28:29], -v[48:49]
	s_wait_loadcnt 0x3
	v_add_f64_e32 v[28:29], v[46:47], v[26:27]
	v_add_f64_e32 v[30:31], v[48:49], v[58:59]
	;; [unrolled: 1-line block ×3, first 2 shown]
	v_add_f64_e64 v[58:59], v[26:27], -v[46:47]
	s_wait_loadcnt 0x0
	v_add_f64_e32 v[26:27], v[4:5], v[20:21]
	v_add_f64_e32 v[50:51], v[44:45], v[24:25]
	v_add_f64_e64 v[24:25], v[24:25], -v[44:45]
	v_add_f64_e64 v[20:21], v[20:21], -v[4:5]
	v_add_f64_e32 v[60:61], v[44:45], v[30:31]
	v_add_f64_e32 v[46:47], v[46:47], v[48:49]
	;; [unrolled: 1-line block ×3, first 2 shown]
	v_add_f64_e64 v[22:23], v[22:23], -v[6:7]
	v_mul_f64_e32 v[44:45], s[0:1], v[26:27]
	v_mul_f64_e32 v[48:49], s[12:13], v[26:27]
	;; [unrolled: 1-line block ×6, first 2 shown]
	s_wait_alu 0xfffe
	v_mul_f64_e32 v[86:87], s[26:27], v[20:21]
	v_mul_f64_e32 v[88:89], s[36:37], v[20:21]
	;; [unrolled: 1-line block ×3, first 2 shown]
	v_fma_f64 v[72:73], v[22:23], s[42:43], v[44:45]
	v_fma_f64 v[44:45], v[22:23], s[16:17], v[44:45]
	;; [unrolled: 1-line block ×12, first 2 shown]
	v_mul_f64_e32 v[22:23], s[16:17], v[20:21]
	v_mul_f64_e32 v[26:27], s[38:39], v[20:21]
	;; [unrolled: 1-line block ×3, first 2 shown]
	v_fma_f64 v[96:97], v[30:31], s[14:15], v[86:87]
	v_fma_f64 v[86:87], v[30:31], s[14:15], -v[86:87]
	v_fma_f64 v[98:99], v[30:31], s[18:19], v[88:89]
	v_fma_f64 v[88:89], v[30:31], s[18:19], -v[88:89]
	;; [unrolled: 2-line block ×3, first 2 shown]
	v_add_f64_e32 v[72:73], v[12:13], v[72:73]
	v_add_f64_e32 v[108:109], v[12:13], v[44:45]
	;; [unrolled: 1-line block ×5, first 2 shown]
	v_add_f64_e64 v[18:19], v[18:19], -v[34:35]
	v_add_f64_e32 v[34:35], v[34:35], v[46:47]
	v_add_f64_e32 v[46:47], v[8:9], v[0:1]
	;; [unrolled: 1-line block ×6, first 2 shown]
	v_fma_f64 v[92:93], v[30:31], s[0:1], v[22:23]
	v_fma_f64 v[22:23], v[30:31], s[0:1], -v[22:23]
	v_fma_f64 v[94:95], v[30:31], s[12:13], v[26:27]
	v_fma_f64 v[26:27], v[30:31], s[12:13], -v[26:27]
	;; [unrolled: 2-line block ×3, first 2 shown]
	v_add_f64_e32 v[96:97], v[14:15], v[96:97]
	v_add_f64_e32 v[30:31], v[14:15], v[88:89]
	;; [unrolled: 1-line block ×17, first 2 shown]
	v_add_f64_e64 v[16:17], v[16:17], -v[32:33]
	v_add_f64_e32 v[32:33], v[32:33], v[60:61]
	v_add_f64_e64 v[60:61], v[2:3], -v[10:11]
	v_mul_f64_e32 v[98:99], s[6:7], v[46:47]
	s_delay_alu instid0(VALU_DEP_1) | instskip(NEXT) | instid1(VALU_DEP_1)
	v_fma_f64 v[102:103], v[60:61], s[30:31], v[98:99]
	v_add_f64_e32 v[78:79], v[102:103], v[78:79]
	v_mul_f64_e32 v[103:104], s[14:15], v[46:47]
	v_mad_u32_u24 v102, 0x68, v101, 0
	s_delay_alu instid0(VALU_DEP_2) | instskip(NEXT) | instid1(VALU_DEP_1)
	v_fma_f64 v[105:106], v[60:61], s[26:27], v[103:104]
	v_add_f64_e32 v[80:81], v[105:106], v[80:81]
	v_mul_f64_e32 v[105:106], s[0:1], v[46:47]
	s_delay_alu instid0(VALU_DEP_1) | instskip(SKIP_1) | instid1(VALU_DEP_2)
	v_fma_f64 v[112:113], v[60:61], s[16:17], v[105:106]
	v_fma_f64 v[105:106], v[60:61], s[42:43], v[105:106]
	v_add_f64_e32 v[82:83], v[112:113], v[82:83]
	s_delay_alu instid0(VALU_DEP_2) | instskip(SKIP_1) | instid1(VALU_DEP_1)
	v_add_f64_e32 v[12:13], v[105:106], v[12:13]
	v_mul_f64_e32 v[105:106], s[0:1], v[14:15]
	v_fma_f64 v[112:113], v[18:19], s[16:17], v[105:106]
	s_delay_alu instid0(VALU_DEP_1) | instskip(SKIP_1) | instid1(VALU_DEP_1)
	v_add_f64_e32 v[78:79], v[112:113], v[78:79]
	v_mul_f64_e32 v[112:113], s[12:13], v[14:15]
	v_fma_f64 v[114:115], v[18:19], s[24:25], v[112:113]
	s_delay_alu instid0(VALU_DEP_1) | instskip(SKIP_1) | instid1(VALU_DEP_1)
	v_add_f64_e32 v[80:81], v[114:115], v[80:81]
	v_mul_f64_e32 v[114:115], s[6:7], v[14:15]
	v_fma_f64 v[116:117], v[18:19], s[20:21], v[114:115]
	v_fma_f64 v[114:115], v[18:19], s[30:31], v[114:115]
	s_delay_alu instid0(VALU_DEP_2) | instskip(NEXT) | instid1(VALU_DEP_2)
	v_add_f64_e32 v[82:83], v[116:117], v[82:83]
	v_add_f64_e32 v[12:13], v[114:115], v[12:13]
	v_mul_f64_e32 v[114:115], s[14:15], v[50:51]
	s_delay_alu instid0(VALU_DEP_1) | instskip(NEXT) | instid1(VALU_DEP_1)
	v_fma_f64 v[116:117], v[58:59], s[34:35], v[114:115]
	v_add_f64_e32 v[78:79], v[116:117], v[78:79]
	v_mul_f64_e32 v[116:117], s[2:3], v[50:51]
	s_delay_alu instid0(VALU_DEP_1) | instskip(NEXT) | instid1(VALU_DEP_1)
	v_fma_f64 v[118:119], v[58:59], s[40:41], v[116:117]
	v_add_f64_e32 v[80:81], v[118:119], v[80:81]
	v_mul_f64_e32 v[118:119], s[12:13], v[50:51]
	s_delay_alu instid0(VALU_DEP_1) | instskip(SKIP_1) | instid1(VALU_DEP_2)
	v_fma_f64 v[120:121], v[58:59], s[38:39], v[118:119]
	v_fma_f64 v[118:119], v[58:59], s[24:25], v[118:119]
	v_add_f64_e32 v[82:83], v[120:121], v[82:83]
	s_delay_alu instid0(VALU_DEP_2) | instskip(SKIP_1) | instid1(VALU_DEP_1)
	v_add_f64_e32 v[12:13], v[118:119], v[12:13]
	v_mul_f64_e32 v[118:119], s[2:3], v[62:63]
	v_fma_f64 v[120:121], v[64:65], s[40:41], v[118:119]
	s_delay_alu instid0(VALU_DEP_1) | instskip(SKIP_1) | instid1(VALU_DEP_1)
	v_add_f64_e32 v[78:79], v[120:121], v[78:79]
	v_mul_f64_e32 v[120:121], s[0:1], v[62:63]
	v_fma_f64 v[122:123], v[64:65], s[16:17], v[120:121]
	s_delay_alu instid0(VALU_DEP_1) | instskip(SKIP_1) | instid1(VALU_DEP_1)
	v_add_f64_e32 v[80:81], v[122:123], v[80:81]
	v_mul_f64_e32 v[122:123], s[18:19], v[62:63]
	v_fma_f64 v[124:125], v[64:65], s[28:29], v[122:123]
	v_fma_f64 v[122:123], v[64:65], s[36:37], v[122:123]
	s_delay_alu instid0(VALU_DEP_2) | instskip(NEXT) | instid1(VALU_DEP_2)
	v_add_f64_e32 v[82:83], v[124:125], v[82:83]
	v_add_f64_e32 v[12:13], v[122:123], v[12:13]
	v_mul_f64_e32 v[122:123], s[12:13], v[56:57]
	s_delay_alu instid0(VALU_DEP_1) | instskip(NEXT) | instid1(VALU_DEP_1)
	v_fma_f64 v[124:125], v[54:55], s[38:39], v[122:123]
	v_add_f64_e32 v[78:79], v[124:125], v[78:79]
	v_mul_f64_e32 v[124:125], s[18:19], v[56:57]
	s_delay_alu instid0(VALU_DEP_1) | instskip(NEXT) | instid1(VALU_DEP_1)
	v_fma_f64 v[126:127], v[54:55], s[28:29], v[124:125]
	v_add_f64_e32 v[80:81], v[126:127], v[80:81]
	v_mul_f64_e32 v[126:127], s[14:15], v[56:57]
	s_delay_alu instid0(VALU_DEP_1) | instskip(SKIP_1) | instid1(VALU_DEP_2)
	v_fma_f64 v[128:129], v[54:55], s[26:27], v[126:127]
	v_fma_f64 v[126:127], v[54:55], s[34:35], v[126:127]
	v_add_f64_e32 v[82:83], v[128:129], v[82:83]
	s_delay_alu instid0(VALU_DEP_2)
	v_add_f64_e32 v[12:13], v[126:127], v[12:13]
	ds_store_2addr_b64 v102, v[78:79], v[80:81] offset0:4 offset1:5
	ds_store_2addr_b64 v102, v[82:83], v[12:13] offset0:6 offset1:7
	v_mul_f64_e32 v[12:13], s[2:3], v[46:47]
	v_add_f64_e64 v[78:79], v[0:1], -v[8:9]
	v_add_f64_e32 v[80:81], v[10:11], v[2:3]
	v_add_f64_e32 v[0:1], v[8:9], v[32:33]
	v_add_f64_e32 v[2:3], v[10:11], v[34:35]
	v_mul_f64_e32 v[8:9], s[18:19], v[46:47]
	v_fma_f64 v[34:35], v[60:61], s[20:21], v[98:99]
	v_fma_f64 v[32:33], v[60:61], s[40:41], v[12:13]
	v_add_f64_e32 v[0:1], v[4:5], v[0:1]
	s_delay_alu instid0(VALU_DEP_4) | instskip(NEXT) | instid1(VALU_DEP_4)
	v_fma_f64 v[10:11], v[60:61], s[36:37], v[8:9]
	v_add_f64_e32 v[34:35], v[34:35], v[68:69]
	v_mul_f64_e32 v[68:69], s[2:3], v[14:15]
	v_add_f64_e32 v[32:33], v[32:33], v[66:67]
	v_fma_f64 v[66:67], v[60:61], s[34:35], v[103:104]
	v_add_f64_e32 v[10:11], v[10:11], v[110:111]
	s_delay_alu instid0(VALU_DEP_2) | instskip(SKIP_1) | instid1(VALU_DEP_1)
	v_add_f64_e32 v[66:67], v[66:67], v[70:71]
	v_fma_f64 v[70:71], v[18:19], s[40:41], v[68:69]
	v_add_f64_e32 v[10:11], v[70:71], v[10:11]
	v_mul_f64_e32 v[70:71], s[18:19], v[14:15]
	s_delay_alu instid0(VALU_DEP_1) | instskip(NEXT) | instid1(VALU_DEP_1)
	v_fma_f64 v[82:83], v[18:19], s[28:29], v[70:71]
	v_add_f64_e32 v[32:33], v[82:83], v[32:33]
	v_fma_f64 v[82:83], v[18:19], s[42:43], v[105:106]
	s_delay_alu instid0(VALU_DEP_1) | instskip(SKIP_1) | instid1(VALU_DEP_1)
	v_add_f64_e32 v[34:35], v[82:83], v[34:35]
	v_fma_f64 v[82:83], v[18:19], s[38:39], v[112:113]
	v_add_f64_e32 v[66:67], v[82:83], v[66:67]
	v_mul_f64_e32 v[82:83], s[6:7], v[50:51]
	s_delay_alu instid0(VALU_DEP_1) | instskip(NEXT) | instid1(VALU_DEP_1)
	v_fma_f64 v[98:99], v[58:59], s[20:21], v[82:83]
	v_add_f64_e32 v[10:11], v[98:99], v[10:11]
	v_mul_f64_e32 v[98:99], s[0:1], v[50:51]
	s_delay_alu instid0(VALU_DEP_1) | instskip(NEXT) | instid1(VALU_DEP_1)
	v_fma_f64 v[103:104], v[58:59], s[42:43], v[98:99]
	v_add_f64_e32 v[32:33], v[103:104], v[32:33]
	v_fma_f64 v[103:104], v[58:59], s[26:27], v[114:115]
	s_delay_alu instid0(VALU_DEP_1) | instskip(SKIP_1) | instid1(VALU_DEP_1)
	v_add_f64_e32 v[34:35], v[103:104], v[34:35]
	v_fma_f64 v[103:104], v[58:59], s[22:23], v[116:117]
	v_add_f64_e32 v[66:67], v[103:104], v[66:67]
	v_mul_f64_e32 v[103:104], s[14:15], v[62:63]
	s_delay_alu instid0(VALU_DEP_1) | instskip(NEXT) | instid1(VALU_DEP_1)
	v_fma_f64 v[105:106], v[64:65], s[34:35], v[103:104]
	v_add_f64_e32 v[10:11], v[105:106], v[10:11]
	v_fma_f64 v[105:106], v[64:65], s[22:23], v[118:119]
	s_delay_alu instid0(VALU_DEP_1) | instskip(SKIP_1) | instid1(VALU_DEP_1)
	v_add_f64_e32 v[34:35], v[105:106], v[34:35]
	v_mul_f64_e32 v[105:106], s[12:13], v[62:63]
	v_fma_f64 v[110:111], v[64:65], s[38:39], v[105:106]
	s_delay_alu instid0(VALU_DEP_1) | instskip(SKIP_1) | instid1(VALU_DEP_1)
	v_add_f64_e32 v[32:33], v[110:111], v[32:33]
	v_fma_f64 v[110:111], v[64:65], s[42:43], v[120:121]
	v_add_f64_e32 v[66:67], v[110:111], v[66:67]
	v_mul_f64_e32 v[110:111], s[0:1], v[56:57]
	s_delay_alu instid0(VALU_DEP_1) | instskip(NEXT) | instid1(VALU_DEP_1)
	v_fma_f64 v[112:113], v[54:55], s[42:43], v[110:111]
	v_add_f64_e32 v[10:11], v[112:113], v[10:11]
	v_fma_f64 v[112:113], v[54:55], s[24:25], v[122:123]
	s_delay_alu instid0(VALU_DEP_1) | instskip(SKIP_1) | instid1(VALU_DEP_1)
	v_add_f64_e32 v[34:35], v[112:113], v[34:35]
	v_fma_f64 v[112:113], v[54:55], s[36:37], v[124:125]
	v_add_f64_e32 v[66:67], v[112:113], v[66:67]
	v_mul_f64_e32 v[112:113], s[6:7], v[56:57]
	s_delay_alu instid0(VALU_DEP_1) | instskip(NEXT) | instid1(VALU_DEP_1)
	v_fma_f64 v[114:115], v[54:55], s[30:31], v[112:113]
	v_add_f64_e32 v[32:33], v[114:115], v[32:33]
	ds_store_2addr_b64 v102, v[66:67], v[34:35] offset0:8 offset1:9
	ds_store_2addr_b64 v102, v[32:33], v[10:11] offset0:10 offset1:11
	v_add_f64_e32 v[66:67], v[6:7], v[2:3]
	v_mul_f64_e32 v[2:3], s[12:13], v[46:47]
	v_mul_f64_e32 v[10:11], s[14:15], v[14:15]
	v_fma_f64 v[6:7], v[60:61], s[28:29], v[8:9]
	v_fma_f64 v[8:9], v[60:61], s[22:23], v[12:13]
	s_delay_alu instid0(VALU_DEP_4) | instskip(NEXT) | instid1(VALU_DEP_4)
	v_fma_f64 v[4:5], v[60:61], s[24:25], v[2:3]
	v_fma_f64 v[12:13], v[18:19], s[34:35], v[10:11]
	s_delay_alu instid0(VALU_DEP_4) | instskip(NEXT) | instid1(VALU_DEP_4)
	v_add_f64_e32 v[6:7], v[6:7], v[74:75]
	v_add_f64_e32 v[8:9], v[8:9], v[76:77]
	v_mul_f64_e32 v[74:75], s[30:31], v[38:39]
	v_mul_f64_e32 v[76:77], s[34:35], v[38:39]
	v_add_f64_e32 v[4:5], v[4:5], v[72:73]
	v_mul_f64_e32 v[72:73], s[42:43], v[24:25]
	s_delay_alu instid0(VALU_DEP_2) | instskip(SKIP_2) | instid1(VALU_DEP_2)
	v_add_f64_e32 v[4:5], v[12:13], v[4:5]
	v_fma_f64 v[12:13], v[18:19], s[22:23], v[68:69]
	v_mul_f64_e32 v[68:69], s[36:37], v[24:25]
	v_add_f64_e32 v[6:7], v[12:13], v[6:7]
	v_fma_f64 v[12:13], v[18:19], s[36:37], v[70:71]
	v_mul_f64_e32 v[70:71], s[20:21], v[24:25]
	s_delay_alu instid0(VALU_DEP_2) | instskip(SKIP_2) | instid1(VALU_DEP_2)
	v_add_f64_e32 v[8:9], v[12:13], v[8:9]
	v_mul_f64_e32 v[12:13], s[18:19], v[50:51]
	v_mul_f64_e32 v[50:51], s[36:37], v[78:79]
	v_fma_f64 v[14:15], v[58:59], s[28:29], v[12:13]
	s_delay_alu instid0(VALU_DEP_1) | instskip(SKIP_2) | instid1(VALU_DEP_2)
	v_add_f64_e32 v[4:5], v[14:15], v[4:5]
	v_fma_f64 v[14:15], v[58:59], s[30:31], v[82:83]
	v_mul_f64_e32 v[82:83], s[38:39], v[38:39]
	v_add_f64_e32 v[6:7], v[14:15], v[6:7]
	v_fma_f64 v[14:15], v[58:59], s[16:17], v[98:99]
	s_delay_alu instid0(VALU_DEP_1) | instskip(SKIP_2) | instid1(VALU_DEP_2)
	v_add_f64_e32 v[8:9], v[14:15], v[8:9]
	v_mul_f64_e32 v[14:15], s[6:7], v[62:63]
	v_mul_f64_e32 v[62:63], s[40:41], v[16:17]
	v_fma_f64 v[32:33], v[64:65], s[20:21], v[14:15]
	s_delay_alu instid0(VALU_DEP_1) | instskip(SKIP_2) | instid1(VALU_DEP_1)
	v_add_f64_e32 v[4:5], v[32:33], v[4:5]
	v_fma_f64 v[32:33], v[64:65], s[26:27], v[103:104]
	v_mad_i32_i24 v103, 0xffffffa0, v101, v102
	v_add_nc_u32_e32 v104, 0x800, v103
	v_add_nc_u32_e32 v107, 0x2800, v103
	s_delay_alu instid0(VALU_DEP_4) | instskip(SKIP_3) | instid1(VALU_DEP_3)
	v_add_f64_e32 v[6:7], v[32:33], v[6:7]
	v_fma_f64 v[32:33], v[64:65], s[24:25], v[105:106]
	v_add_nc_u32_e32 v105, 0x1400, v103
	v_add_nc_u32_e32 v106, 0x1e00, v103
	v_add_f64_e32 v[8:9], v[32:33], v[8:9]
	v_fma_f64 v[32:33], v[54:55], s[16:17], v[110:111]
	s_delay_alu instid0(VALU_DEP_1) | instskip(SKIP_1) | instid1(VALU_DEP_1)
	v_add_f64_e32 v[6:7], v[32:33], v[6:7]
	v_fma_f64 v[32:33], v[54:55], s[20:21], v[112:113]
	v_add_f64_e32 v[8:9], v[32:33], v[8:9]
	v_mul_f64_e32 v[32:33], s[2:3], v[56:57]
	s_delay_alu instid0(VALU_DEP_1) | instskip(NEXT) | instid1(VALU_DEP_1)
	v_fma_f64 v[34:35], v[54:55], s[22:23], v[32:33]
	v_add_f64_e32 v[4:5], v[34:35], v[4:5]
	ds_store_2addr_b64 v102, v[6:7], v[8:9] offset0:2 offset1:3
	ds_store_2addr_b64 v102, v[0:1], v[4:5] offset1:1
	v_fma_f64 v[0:1], v[60:61], s[38:39], v[2:3]
	v_fma_f64 v[2:3], v[18:19], s[26:27], v[10:11]
	v_mul_f64_e32 v[18:19], s[38:39], v[78:79]
	v_mul_f64_e32 v[60:61], s[26:27], v[16:17]
	v_fma_f64 v[4:5], v[58:59], s[36:37], v[12:13]
	v_fma_f64 v[12:13], v[80:81], s[18:19], v[50:51]
	v_mul_f64_e32 v[58:59], s[40:41], v[78:79]
	v_fma_f64 v[6:7], v[64:65], s[30:31], v[14:15]
	v_mul_f64_e32 v[64:65], s[28:29], v[16:17]
	v_fma_f64 v[8:9], v[54:55], s[40:41], v[32:33]
	v_add_f64_e32 v[0:1], v[0:1], v[108:109]
	v_mul_f64_e32 v[109:110], s[30:31], v[40:41]
	v_fma_f64 v[10:11], v[80:81], s[12:13], v[18:19]
	v_add_nc_u32_e32 v108, 0x3400, v103
	v_add_f64_e32 v[12:13], v[12:13], v[94:95]
	v_fma_f64 v[14:15], v[80:81], s[2:3], v[58:59]
	v_add_f64_e32 v[0:1], v[2:3], v[0:1]
	v_fma_f64 v[2:3], v[48:49], s[14:15], v[60:61]
	v_add_f64_e32 v[10:11], v[10:11], v[92:93]
	v_mul_f64_e32 v[92:93], s[40:41], v[40:41]
	v_fma_f64 v[60:61], v[48:49], s[14:15], -v[60:61]
	v_add_f64_e32 v[14:15], v[14:15], v[96:97]
	v_mul_f64_e32 v[96:97], s[42:43], v[40:41]
	v_add_f64_e32 v[0:1], v[4:5], v[0:1]
	v_fma_f64 v[4:5], v[28:29], s[18:19], v[68:69]
	v_add_f64_e32 v[2:3], v[2:3], v[10:11]
	v_fma_f64 v[10:11], v[48:49], s[2:3], v[62:63]
	v_fma_f64 v[62:63], v[48:49], s[2:3], -v[62:63]
	v_add_f64_e32 v[0:1], v[6:7], v[0:1]
	v_fma_f64 v[6:7], v[36:37], s[6:7], v[74:75]
	v_add_f64_e32 v[2:3], v[4:5], v[2:3]
	v_add_f64_e32 v[10:11], v[10:11], v[12:13]
	v_fma_f64 v[12:13], v[48:49], s[18:19], v[64:65]
	v_fma_f64 v[4:5], v[28:29], s[6:7], v[70:71]
	v_fma_f64 v[64:65], v[48:49], s[18:19], -v[64:65]
	v_add_f64_e32 v[0:1], v[8:9], v[0:1]
	v_fma_f64 v[8:9], v[42:43], s[2:3], v[92:93]
	v_add_f64_e32 v[2:3], v[6:7], v[2:3]
	v_fma_f64 v[6:7], v[36:37], s[14:15], v[76:77]
	v_add_f64_e32 v[12:13], v[12:13], v[14:15]
	v_add_f64_e32 v[4:5], v[4:5], v[10:11]
	v_fma_f64 v[10:11], v[28:29], s[0:1], v[72:73]
	ds_store_b64 v102, v[0:1] offset:96
	global_wb scope:SCOPE_SE
	s_wait_dscnt 0x0
	v_add_f64_e32 v[94:95], v[8:9], v[2:3]
	v_fma_f64 v[2:3], v[42:43], s[0:1], v[96:97]
	s_barrier_signal -1
	v_add_f64_e32 v[4:5], v[6:7], v[4:5]
	v_add_f64_e32 v[10:11], v[10:11], v[12:13]
	v_fma_f64 v[6:7], v[36:37], s[12:13], v[82:83]
	s_barrier_wait -1
	global_inv scope:SCOPE_SE
	v_add_f64_e32 v[98:99], v[2:3], v[4:5]
	v_fma_f64 v[2:3], v[42:43], s[6:7], v[109:110]
	v_add_f64_e32 v[6:7], v[6:7], v[10:11]
	s_delay_alu instid0(VALU_DEP_1)
	v_add_f64_e32 v[111:112], v[2:3], v[6:7]
	ds_load_b64 v[46:47], v103 offset:16224
	ds_load_2addr_b64 v[0:3], v103 offset1:169
	ds_load_2addr_b64 v[32:35], v104 offset0:82 offset1:251
	ds_load_2addr_b64 v[12:15], v105 offset0:36 offset1:205
	ds_load_2addr_b64 v[8:11], v106 offset0:54 offset1:223
	ds_load_2addr_b64 v[4:7], v107 offset0:72 offset1:241
	ds_load_2addr_b64 v[54:57], v108 offset0:26 offset1:195
	global_wb scope:SCOPE_SE
	s_wait_dscnt 0x0
	s_barrier_signal -1
	s_barrier_wait -1
	global_inv scope:SCOPE_SE
	ds_store_2addr_b64 v102, v[66:67], v[94:95] offset1:1
	ds_store_2addr_b64 v102, v[98:99], v[111:112] offset0:2 offset1:3
	v_mul_f64_e32 v[66:67], s[20:21], v[78:79]
	s_delay_alu instid0(VALU_DEP_1) | instskip(NEXT) | instid1(VALU_DEP_1)
	v_fma_f64 v[94:95], v[80:81], s[6:7], v[66:67]
	v_add_f64_e32 v[86:87], v[94:95], v[86:87]
	v_mul_f64_e32 v[94:95], s[34:35], v[78:79]
	v_mul_f64_e32 v[78:79], s[42:43], v[78:79]
	s_delay_alu instid0(VALU_DEP_2) | instskip(NEXT) | instid1(VALU_DEP_1)
	v_fma_f64 v[98:99], v[80:81], s[14:15], v[94:95]
	v_add_f64_e32 v[88:89], v[98:99], v[88:89]
	s_delay_alu instid0(VALU_DEP_3) | instskip(SKIP_1) | instid1(VALU_DEP_2)
	v_fma_f64 v[98:99], v[80:81], s[0:1], v[78:79]
	v_fma_f64 v[78:79], v[80:81], s[0:1], -v[78:79]
	v_add_f64_e32 v[90:91], v[98:99], v[90:91]
	s_delay_alu instid0(VALU_DEP_2) | instskip(SKIP_1) | instid1(VALU_DEP_1)
	v_add_f64_e32 v[78:79], v[78:79], v[84:85]
	v_mul_f64_e32 v[84:85], s[42:43], v[16:17]
	v_fma_f64 v[98:99], v[48:49], s[0:1], v[84:85]
	s_delay_alu instid0(VALU_DEP_1) | instskip(SKIP_2) | instid1(VALU_DEP_2)
	v_add_f64_e32 v[86:87], v[98:99], v[86:87]
	v_mul_f64_e32 v[98:99], s[38:39], v[16:17]
	v_mul_f64_e32 v[16:17], s[30:31], v[16:17]
	v_fma_f64 v[111:112], v[48:49], s[12:13], v[98:99]
	s_delay_alu instid0(VALU_DEP_1) | instskip(NEXT) | instid1(VALU_DEP_3)
	v_add_f64_e32 v[88:89], v[111:112], v[88:89]
	v_fma_f64 v[111:112], v[48:49], s[6:7], v[16:17]
	v_fma_f64 v[16:17], v[48:49], s[6:7], -v[16:17]
	s_delay_alu instid0(VALU_DEP_2) | instskip(NEXT) | instid1(VALU_DEP_2)
	v_add_f64_e32 v[90:91], v[111:112], v[90:91]
	v_add_f64_e32 v[16:17], v[16:17], v[78:79]
	v_mul_f64_e32 v[78:79], s[26:27], v[24:25]
	s_delay_alu instid0(VALU_DEP_1) | instskip(NEXT) | instid1(VALU_DEP_1)
	v_fma_f64 v[111:112], v[28:29], s[14:15], v[78:79]
	v_add_f64_e32 v[86:87], v[111:112], v[86:87]
	v_mul_f64_e32 v[111:112], s[22:23], v[24:25]
	v_mul_f64_e32 v[24:25], s[24:25], v[24:25]
	s_delay_alu instid0(VALU_DEP_2) | instskip(NEXT) | instid1(VALU_DEP_1)
	v_fma_f64 v[113:114], v[28:29], s[2:3], v[111:112]
	v_add_f64_e32 v[88:89], v[113:114], v[88:89]
	s_delay_alu instid0(VALU_DEP_3) | instskip(SKIP_1) | instid1(VALU_DEP_2)
	v_fma_f64 v[113:114], v[28:29], s[12:13], v[24:25]
	v_fma_f64 v[24:25], v[28:29], s[12:13], -v[24:25]
	v_add_f64_e32 v[90:91], v[113:114], v[90:91]
	s_delay_alu instid0(VALU_DEP_2) | instskip(SKIP_1) | instid1(VALU_DEP_1)
	v_add_f64_e32 v[16:17], v[24:25], v[16:17]
	v_mul_f64_e32 v[24:25], s[22:23], v[38:39]
	v_fma_f64 v[113:114], v[36:37], s[2:3], v[24:25]
	v_fma_f64 v[24:25], v[36:37], s[2:3], -v[24:25]
	s_delay_alu instid0(VALU_DEP_2) | instskip(SKIP_2) | instid1(VALU_DEP_2)
	v_add_f64_e32 v[86:87], v[113:114], v[86:87]
	v_mul_f64_e32 v[113:114], s[42:43], v[38:39]
	v_mul_f64_e32 v[38:39], s[36:37], v[38:39]
	v_fma_f64 v[115:116], v[36:37], s[0:1], v[113:114]
	s_delay_alu instid0(VALU_DEP_1) | instskip(NEXT) | instid1(VALU_DEP_3)
	v_add_f64_e32 v[88:89], v[115:116], v[88:89]
	v_fma_f64 v[115:116], v[36:37], s[18:19], v[38:39]
	v_fma_f64 v[38:39], v[36:37], s[18:19], -v[38:39]
	s_delay_alu instid0(VALU_DEP_2) | instskip(NEXT) | instid1(VALU_DEP_2)
	v_add_f64_e32 v[90:91], v[115:116], v[90:91]
	v_add_f64_e32 v[16:17], v[38:39], v[16:17]
	v_mul_f64_e32 v[38:39], s[24:25], v[40:41]
	s_delay_alu instid0(VALU_DEP_1) | instskip(NEXT) | instid1(VALU_DEP_1)
	v_fma_f64 v[115:116], v[42:43], s[12:13], v[38:39]
	v_add_f64_e32 v[86:87], v[115:116], v[86:87]
	v_mul_f64_e32 v[115:116], s[36:37], v[40:41]
	v_mul_f64_e32 v[40:41], s[34:35], v[40:41]
	s_delay_alu instid0(VALU_DEP_2) | instskip(NEXT) | instid1(VALU_DEP_1)
	v_fma_f64 v[117:118], v[42:43], s[18:19], v[115:116]
	v_add_f64_e32 v[88:89], v[117:118], v[88:89]
	s_delay_alu instid0(VALU_DEP_3) | instskip(SKIP_1) | instid1(VALU_DEP_2)
	v_fma_f64 v[117:118], v[42:43], s[14:15], v[40:41]
	v_fma_f64 v[40:41], v[42:43], s[14:15], -v[40:41]
	v_add_f64_e32 v[90:91], v[117:118], v[90:91]
	s_delay_alu instid0(VALU_DEP_2)
	v_add_f64_e32 v[16:17], v[40:41], v[16:17]
	ds_store_2addr_b64 v102, v[86:87], v[88:89] offset0:4 offset1:5
	ds_store_2addr_b64 v102, v[90:91], v[16:17] offset0:6 offset1:7
	v_fma_f64 v[16:17], v[80:81], s[12:13], -v[18:19]
	v_fma_f64 v[18:19], v[80:81], s[18:19], -v[50:51]
	;; [unrolled: 1-line block ×7, first 2 shown]
	v_add_f64_e32 v[16:17], v[16:17], v[20:21]
	v_add_f64_e32 v[18:19], v[18:19], v[22:23]
	;; [unrolled: 1-line block ×5, first 2 shown]
	v_fma_f64 v[30:31], v[28:29], s[18:19], -v[68:69]
	v_fma_f64 v[40:41], v[28:29], s[6:7], -v[70:71]
	;; [unrolled: 1-line block ×5, first 2 shown]
	v_add_f64_e32 v[16:17], v[60:61], v[16:17]
	v_add_f64_e32 v[18:19], v[62:63], v[18:19]
	;; [unrolled: 1-line block ×7, first 2 shown]
	v_fma_f64 v[30:31], v[36:37], s[14:15], -v[76:77]
	v_add_f64_e32 v[22:23], v[50:51], v[22:23]
	v_add_f64_e32 v[26:27], v[28:29], v[26:27]
	v_fma_f64 v[28:29], v[36:37], s[6:7], -v[74:75]
	v_fma_f64 v[40:41], v[36:37], s[12:13], -v[82:83]
	v_fma_f64 v[36:37], v[36:37], s[0:1], -v[113:114]
	v_add_f64_e32 v[20:21], v[44:45], v[20:21]
	v_add_f64_e32 v[18:19], v[30:31], v[18:19]
	;; [unrolled: 1-line block ×3, first 2 shown]
	v_fma_f64 v[30:31], v[42:43], s[0:1], -v[96:97]
	v_add_f64_e32 v[16:17], v[28:29], v[16:17]
	v_fma_f64 v[28:29], v[42:43], s[18:19], -v[115:116]
	v_add_f64_e32 v[24:25], v[36:37], v[26:27]
	;; [unrolled: 2-line block ×3, first 2 shown]
	v_fma_f64 v[36:37], v[42:43], s[6:7], -v[109:110]
	v_fma_f64 v[38:39], v[42:43], s[2:3], -v[92:93]
	v_add_f64_e32 v[18:19], v[30:31], v[18:19]
	v_add_f64_e32 v[24:25], v[28:29], v[24:25]
	v_add_f64_e32 v[22:23], v[26:27], v[22:23]
	v_add_f64_e32 v[20:21], v[36:37], v[20:21]
	v_add_f64_e32 v[16:17], v[38:39], v[16:17]
	ds_store_2addr_b64 v102, v[24:25], v[22:23] offset0:8 offset1:9
	v_and_b32_e32 v22, 0xff, v101
	ds_store_2addr_b64 v102, v[20:21], v[18:19] offset0:10 offset1:11
	ds_store_b64 v102, v[16:17] offset:96
	global_wb scope:SCOPE_SE
	s_wait_dscnt 0x0
	s_barrier_signal -1
	s_barrier_wait -1
	v_mul_lo_u16 v22, 0x4f, v22
	global_inv scope:SCOPE_SE
	ds_load_2addr_b64 v[24:27], v104 offset0:82 offset1:251
	v_lshrrev_b16 v109, 10, v22
	s_delay_alu instid0(VALU_DEP_1) | instskip(SKIP_1) | instid1(VALU_DEP_2)
	v_mul_lo_u16 v22, v109, 13
	v_and_b32_e32 v109, 0xffff, v109
	v_sub_nc_u16 v22, v101, v22
	s_delay_alu instid0(VALU_DEP_2) | instskip(NEXT) | instid1(VALU_DEP_2)
	v_mul_u32_u24_e32 v109, 0x548, v109
	v_and_b32_e32 v110, 0xff, v22
	s_delay_alu instid0(VALU_DEP_1) | instskip(SKIP_1) | instid1(VALU_DEP_2)
	v_mul_u32_u24_e32 v22, 12, v110
	v_lshlrev_b32_e32 v110, 3, v110
	v_lshlrev_b32_e32 v48, 4, v22
	s_delay_alu instid0(VALU_DEP_2)
	v_add3_u32 v165, 0, v109, v110
	s_clause 0x2
	global_load_b128 v[18:21], v48, s[4:5] offset:16
	global_load_b128 v[28:31], v48, s[4:5] offset:32
	;; [unrolled: 1-line block ×3, first 2 shown]
	s_wait_loadcnt 0x2
	v_mul_f64_e32 v[16:17], v[32:33], v[20:21]
	s_wait_dscnt 0x0
	v_mul_f64_e32 v[20:21], v[24:25], v[20:21]
	s_delay_alu instid0(VALU_DEP_2) | instskip(NEXT) | instid1(VALU_DEP_2)
	v_fma_f64 v[16:17], v[24:25], v[18:19], v[16:17]
	v_fma_f64 v[24:25], v[32:33], v[18:19], -v[20:21]
	s_wait_loadcnt 0x1
	v_mul_f64_e32 v[18:19], v[34:35], v[30:31]
	s_delay_alu instid0(VALU_DEP_1) | instskip(SKIP_1) | instid1(VALU_DEP_1)
	v_fma_f64 v[20:21], v[26:27], v[28:29], v[18:19]
	v_mul_f64_e32 v[18:19], v[26:27], v[30:31]
	v_fma_f64 v[26:27], v[34:35], v[28:29], -v[18:19]
	global_load_b128 v[28:31], v48, s[4:5] offset:160
	ds_load_2addr_b64 v[32:35], v108 offset0:26 offset1:195
	s_wait_loadcnt 0x0
	v_mul_f64_e32 v[18:19], v[56:57], v[30:31]
	s_wait_dscnt 0x0
	v_mul_f64_e32 v[22:23], v[34:35], v[30:31]
	s_delay_alu instid0(VALU_DEP_2) | instskip(NEXT) | instid1(VALU_DEP_2)
	v_fma_f64 v[18:19], v[34:35], v[28:29], v[18:19]
	v_fma_f64 v[28:29], v[56:57], v[28:29], -v[22:23]
	s_clause 0x1
	global_load_b128 v[40:43], v48, s[4:5] offset:144
	global_load_b128 v[56:59], v48, s[4:5] offset:128
	s_wait_loadcnt 0x1
	v_mul_f64_e32 v[22:23], v[54:55], v[42:43]
	v_mul_f64_e32 v[30:31], v[32:33], v[42:43]
	s_delay_alu instid0(VALU_DEP_2) | instskip(NEXT) | instid1(VALU_DEP_2)
	v_fma_f64 v[22:23], v[32:33], v[40:41], v[22:23]
	v_fma_f64 v[30:31], v[54:55], v[40:41], -v[30:31]
	ds_load_2addr_b64 v[40:43], v105 offset0:36 offset1:205
	s_wait_dscnt 0x0
	v_mul_f64_e32 v[32:33], v[40:41], v[38:39]
	v_add_f64_e32 v[119:120], v[26:27], v[30:31]
	s_delay_alu instid0(VALU_DEP_2) | instskip(SKIP_1) | instid1(VALU_DEP_1)
	v_fma_f64 v[32:33], v[12:13], v[36:37], -v[32:33]
	v_mul_f64_e32 v[12:13], v[12:13], v[38:39]
	v_fma_f64 v[12:13], v[40:41], v[36:37], v[12:13]
	s_clause 0x1
	global_load_b128 v[36:39], v48, s[4:5] offset:64
	global_load_b128 v[60:63], v48, s[4:5] offset:80
	s_wait_loadcnt 0x1
	v_mul_f64_e32 v[34:35], v[42:43], v[38:39]
	s_delay_alu instid0(VALU_DEP_1) | instskip(SKIP_1) | instid1(VALU_DEP_1)
	v_fma_f64 v[34:35], v[14:15], v[36:37], -v[34:35]
	v_mul_f64_e32 v[14:15], v[14:15], v[38:39]
	v_fma_f64 v[14:15], v[42:43], v[36:37], v[14:15]
	ds_load_2addr_b64 v[40:43], v106 offset0:54 offset1:223
	s_wait_loadcnt_dscnt 0x0
	v_mul_f64_e32 v[36:37], v[40:41], v[62:63]
	s_delay_alu instid0(VALU_DEP_1) | instskip(SKIP_1) | instid1(VALU_DEP_1)
	v_fma_f64 v[38:39], v[8:9], v[60:61], -v[36:37]
	v_mul_f64_e32 v[8:9], v[8:9], v[62:63]
	v_fma_f64 v[36:37], v[40:41], v[60:61], v[8:9]
	s_clause 0x1
	global_load_b128 v[60:63], v48, s[4:5] offset:96
	global_load_b128 v[64:67], v48, s[4:5] offset:112
	ds_load_b64 v[49:50], v103 offset:16224
	s_wait_loadcnt 0x1
	v_mul_f64_e32 v[8:9], v[42:43], v[62:63]
	s_delay_alu instid0(VALU_DEP_1) | instskip(SKIP_1) | instid1(VALU_DEP_2)
	v_fma_f64 v[40:41], v[10:11], v[60:61], -v[8:9]
	v_mul_f64_e32 v[8:9], v[10:11], v[62:63]
	v_add_f64_e32 v[143:144], v[38:39], v[40:41]
	s_delay_alu instid0(VALU_DEP_2) | instskip(SKIP_4) | instid1(VALU_DEP_2)
	v_fma_f64 v[10:11], v[42:43], v[60:61], v[8:9]
	ds_load_2addr_b64 v[60:63], v107 offset0:72 offset1:241
	v_mul_f64_e32 v[8:9], v[6:7], v[58:59]
	s_wait_dscnt 0x0
	v_mul_f64_e32 v[42:43], v[62:63], v[58:59]
	v_fma_f64 v[8:9], v[62:63], v[56:57], v[8:9]
	s_delay_alu instid0(VALU_DEP_2) | instskip(SKIP_4) | instid1(VALU_DEP_2)
	v_fma_f64 v[42:43], v[6:7], v[56:57], -v[42:43]
	global_load_b128 v[54:57], v48, s[4:5] offset:176
	s_wait_loadcnt 0x1
	v_mul_f64_e32 v[6:7], v[60:61], v[66:67]
	v_add_f64_e32 v[127:128], v[32:33], v[42:43]
	v_fma_f64 v[6:7], v[4:5], v[64:65], -v[6:7]
	v_mul_f64_e32 v[4:5], v[4:5], v[66:67]
	s_delay_alu instid0(VALU_DEP_2) | instskip(NEXT) | instid1(VALU_DEP_2)
	v_add_f64_e32 v[135:136], v[34:35], v[6:7]
	v_fma_f64 v[44:45], v[60:61], v[64:65], v[4:5]
	ds_load_2addr_b64 v[62:65], v103 offset1:169
	s_wait_loadcnt 0x0
	v_mul_f64_e32 v[4:5], v[46:47], v[56:57]
	s_delay_alu instid0(VALU_DEP_1) | instskip(SKIP_1) | instid1(VALU_DEP_1)
	v_fma_f64 v[4:5], v[49:50], v[54:55], v[4:5]
	v_mul_f64_e32 v[49:50], v[49:50], v[56:57]
	v_fma_f64 v[46:47], v[46:47], v[54:55], -v[49:50]
	global_load_b128 v[48:51], v48, s[4:5]
	global_wb scope:SCOPE_SE
	s_wait_loadcnt_dscnt 0x0
	s_barrier_signal -1
	s_barrier_wait -1
	global_inv scope:SCOPE_SE
	v_mul_f64_e32 v[54:55], v[2:3], v[50:51]
	v_mul_f64_e32 v[50:51], v[64:65], v[50:51]
	s_delay_alu instid0(VALU_DEP_2) | instskip(NEXT) | instid1(VALU_DEP_2)
	v_fma_f64 v[54:55], v[64:65], v[48:49], v[54:55]
	v_fma_f64 v[48:49], v[2:3], v[48:49], -v[50:51]
	s_delay_alu instid0(VALU_DEP_2) | instskip(NEXT) | instid1(VALU_DEP_2)
	v_add_f64_e64 v[2:3], v[54:55], -v[4:5]
	v_add_f64_e32 v[66:67], v[48:49], v[46:47]
	s_delay_alu instid0(VALU_DEP_2)
	v_mul_f64_e32 v[50:51], s[16:17], v[2:3]
	v_mul_f64_e32 v[56:57], s[38:39], v[2:3]
	;; [unrolled: 1-line block ×6, first 2 shown]
	v_fma_f64 v[68:69], v[66:67], s[0:1], -v[50:51]
	v_fma_f64 v[50:51], v[66:67], s[0:1], v[50:51]
	v_fma_f64 v[70:71], v[66:67], s[12:13], -v[56:57]
	v_fma_f64 v[56:57], v[66:67], s[12:13], v[56:57]
	;; [unrolled: 2-line block ×6, first 2 shown]
	v_add_f64_e32 v[76:77], v[0:1], v[68:69]
	v_add_f64_e32 v[2:3], v[0:1], v[50:51]
	v_add_f64_e32 v[111:112], v[0:1], v[70:71]
	v_add_f64_e32 v[78:79], v[0:1], v[56:57]
	v_add_f64_e32 v[113:114], v[0:1], v[72:73]
	v_add_f64_e32 v[80:81], v[0:1], v[58:59]
	v_add_f64_e32 v[98:99], v[0:1], v[74:75]
	v_add_f64_e32 v[84:85], v[0:1], v[60:61]
	v_add_f64_e32 v[96:97], v[0:1], v[82:83]
	v_add_f64_e32 v[86:87], v[0:1], v[64:65]
	v_add_f64_e32 v[94:95], v[0:1], v[88:89]
	v_add_f64_e32 v[92:93], v[0:1], v[66:67]
	v_add_f64_e32 v[74:75], v[0:1], v[48:49]
	v_add_f64_e64 v[0:1], v[48:49], -v[46:47]
	v_add_f64_e32 v[64:65], v[54:55], v[4:5]
	v_add_f64_e32 v[72:73], v[62:63], v[54:55]
	s_delay_alu instid0(VALU_DEP_4) | instskip(NEXT) | instid1(VALU_DEP_4)
	v_add_f64_e32 v[74:75], v[74:75], v[24:25]
	v_mul_f64_e32 v[48:49], s[16:17], v[0:1]
	v_mul_f64_e32 v[58:59], s[36:37], v[0:1]
	;; [unrolled: 1-line block ×6, first 2 shown]
	v_add_f64_e32 v[74:75], v[74:75], v[26:27]
	v_fma_f64 v[66:67], v[64:65], s[0:1], v[48:49]
	v_fma_f64 v[88:89], v[64:65], s[18:19], v[58:59]
	;; [unrolled: 1-line block ×6, first 2 shown]
	v_fma_f64 v[117:118], v[64:65], s[2:3], -v[0:1]
	v_fma_f64 v[48:49], v[64:65], s[0:1], -v[48:49]
	;; [unrolled: 1-line block ×6, first 2 shown]
	v_add_f64_e64 v[26:27], v[26:27], -v[30:31]
	v_add_f64_e32 v[74:75], v[74:75], v[32:33]
	v_add_f64_e32 v[0:1], v[62:63], v[66:67]
	;; [unrolled: 1-line block ×3, first 2 shown]
	v_add_f64_e64 v[88:89], v[16:17], -v[18:19]
	v_add_f64_e32 v[70:71], v[62:63], v[68:69]
	v_add_f64_e32 v[68:69], v[62:63], v[82:83]
	;; [unrolled: 1-line block ×11, first 2 shown]
	v_add_f64_e64 v[24:25], v[24:25], -v[28:29]
	v_add_f64_e32 v[74:75], v[74:75], v[34:35]
	v_add_f64_e64 v[34:35], v[34:35], -v[6:7]
	v_mul_f64_e32 v[90:91], s[36:37], v[88:89]
	v_mul_f64_e32 v[109:110], s[20:21], v[88:89]
	s_delay_alu instid0(VALU_DEP_4) | instskip(NEXT) | instid1(VALU_DEP_3)
	v_add_f64_e32 v[74:75], v[74:75], v[38:39]
	v_fma_f64 v[115:116], v[82:83], s[18:19], -v[90:91]
	s_delay_alu instid0(VALU_DEP_2) | instskip(NEXT) | instid1(VALU_DEP_2)
	v_add_f64_e32 v[74:75], v[74:75], v[40:41]
	v_add_f64_e32 v[111:112], v[115:116], v[111:112]
	v_mul_f64_e32 v[115:116], s[40:41], v[88:89]
	s_delay_alu instid0(VALU_DEP_3) | instskip(NEXT) | instid1(VALU_DEP_2)
	v_add_f64_e32 v[74:75], v[74:75], v[6:7]
	v_fma_f64 v[117:118], v[82:83], s[2:3], -v[115:116]
	s_delay_alu instid0(VALU_DEP_2) | instskip(NEXT) | instid1(VALU_DEP_2)
	v_add_f64_e32 v[74:75], v[74:75], v[42:43]
	v_add_f64_e32 v[113:114], v[117:118], v[113:114]
	v_add_f64_e64 v[117:118], v[20:21], -v[22:23]
	s_delay_alu instid0(VALU_DEP_3)
	v_add_f64_e32 v[74:75], v[74:75], v[30:31]
	v_add_f64_e64 v[30:31], v[32:33], -v[42:43]
	v_add_f64_e32 v[42:43], v[72:73], v[16:17]
	v_add_f64_e32 v[72:73], v[14:15], v[44:45]
	v_add_f64_e64 v[32:33], v[38:39], -v[40:41]
	v_mul_f64_e32 v[121:122], s[40:41], v[117:118]
	v_add_f64_e32 v[74:75], v[74:75], v[28:29]
	v_add_f64_e32 v[42:43], v[42:43], v[20:21]
	s_delay_alu instid0(VALU_DEP_3) | instskip(NEXT) | instid1(VALU_DEP_3)
	v_fma_f64 v[123:124], v[119:120], s[2:3], -v[121:122]
	v_add_f64_e32 v[46:47], v[74:75], v[46:47]
	v_mul_f64_e32 v[74:75], s[26:27], v[26:27]
	s_delay_alu instid0(VALU_DEP_4) | instskip(NEXT) | instid1(VALU_DEP_4)
	v_add_f64_e32 v[42:43], v[42:43], v[12:13]
	v_add_f64_e32 v[111:112], v[123:124], v[111:112]
	v_mul_f64_e32 v[123:124], s[28:29], v[117:118]
	s_delay_alu instid0(VALU_DEP_3) | instskip(NEXT) | instid1(VALU_DEP_2)
	v_add_f64_e32 v[42:43], v[42:43], v[14:15]
	v_fma_f64 v[125:126], v[119:120], s[18:19], -v[123:124]
	s_delay_alu instid0(VALU_DEP_2) | instskip(NEXT) | instid1(VALU_DEP_2)
	v_add_f64_e32 v[42:43], v[42:43], v[36:37]
	v_add_f64_e32 v[113:114], v[125:126], v[113:114]
	v_add_f64_e64 v[125:126], v[12:13], -v[8:9]
	s_delay_alu instid0(VALU_DEP_1) | instskip(NEXT) | instid1(VALU_DEP_1)
	v_mul_f64_e32 v[129:130], s[20:21], v[125:126]
	v_fma_f64 v[131:132], v[127:128], s[6:7], -v[129:130]
	s_delay_alu instid0(VALU_DEP_1) | instskip(SKIP_1) | instid1(VALU_DEP_1)
	v_add_f64_e32 v[111:112], v[131:132], v[111:112]
	v_mul_f64_e32 v[131:132], s[42:43], v[125:126]
	v_fma_f64 v[133:134], v[127:128], s[0:1], -v[131:132]
	s_delay_alu instid0(VALU_DEP_1) | instskip(SKIP_1) | instid1(VALU_DEP_1)
	v_add_f64_e32 v[113:114], v[133:134], v[113:114]
	v_add_f64_e64 v[133:134], v[14:15], -v[44:45]
	v_mul_f64_e32 v[137:138], s[34:35], v[133:134]
	s_delay_alu instid0(VALU_DEP_1) | instskip(NEXT) | instid1(VALU_DEP_1)
	v_fma_f64 v[139:140], v[135:136], s[14:15], -v[137:138]
	v_add_f64_e32 v[111:112], v[139:140], v[111:112]
	v_mul_f64_e32 v[139:140], s[38:39], v[133:134]
	s_delay_alu instid0(VALU_DEP_1) | instskip(NEXT) | instid1(VALU_DEP_1)
	v_fma_f64 v[141:142], v[135:136], s[12:13], -v[139:140]
	v_add_f64_e32 v[113:114], v[141:142], v[113:114]
	v_add_f64_e64 v[141:142], v[36:37], -v[10:11]
	v_add_f64_e32 v[36:37], v[36:37], v[10:11]
	v_add_f64_e32 v[10:11], v[42:43], v[10:11]
	;; [unrolled: 1-line block ×3, first 2 shown]
	s_delay_alu instid0(VALU_DEP_4) | instskip(NEXT) | instid1(VALU_DEP_1)
	v_mul_f64_e32 v[145:146], s[42:43], v[141:142]
	v_fma_f64 v[147:148], v[143:144], s[0:1], -v[145:146]
	s_delay_alu instid0(VALU_DEP_1) | instskip(SKIP_1) | instid1(VALU_DEP_1)
	v_add_f64_e32 v[111:112], v[147:148], v[111:112]
	v_mul_f64_e32 v[147:148], s[30:31], v[141:142]
	v_fma_f64 v[149:150], v[143:144], s[6:7], -v[147:148]
	s_delay_alu instid0(VALU_DEP_1) | instskip(SKIP_2) | instid1(VALU_DEP_1)
	v_add_f64_e32 v[113:114], v[149:150], v[113:114]
	ds_store_2addr_b64 v165, v[111:112], v[113:114] offset0:26 offset1:39
	v_fma_f64 v[111:112], v[82:83], s[6:7], -v[109:110]
	v_add_f64_e32 v[98:99], v[111:112], v[98:99]
	v_mul_f64_e32 v[111:112], s[34:35], v[88:89]
	s_delay_alu instid0(VALU_DEP_1) | instskip(NEXT) | instid1(VALU_DEP_1)
	v_fma_f64 v[113:114], v[82:83], s[14:15], -v[111:112]
	v_add_f64_e32 v[96:97], v[113:114], v[96:97]
	v_mul_f64_e32 v[113:114], s[42:43], v[117:118]
	s_delay_alu instid0(VALU_DEP_1) | instskip(NEXT) | instid1(VALU_DEP_1)
	v_fma_f64 v[149:150], v[119:120], s[0:1], -v[113:114]
	v_add_f64_e32 v[98:99], v[149:150], v[98:99]
	v_mul_f64_e32 v[149:150], s[38:39], v[117:118]
	s_delay_alu instid0(VALU_DEP_1) | instskip(NEXT) | instid1(VALU_DEP_1)
	v_fma_f64 v[151:152], v[119:120], s[12:13], -v[149:150]
	v_add_f64_e32 v[96:97], v[151:152], v[96:97]
	v_mul_f64_e32 v[151:152], s[26:27], v[125:126]
	s_delay_alu instid0(VALU_DEP_1) | instskip(NEXT) | instid1(VALU_DEP_1)
	v_fma_f64 v[153:154], v[127:128], s[14:15], -v[151:152]
	v_add_f64_e32 v[98:99], v[153:154], v[98:99]
	v_mul_f64_e32 v[153:154], s[22:23], v[125:126]
	s_delay_alu instid0(VALU_DEP_1) | instskip(NEXT) | instid1(VALU_DEP_1)
	v_fma_f64 v[155:156], v[127:128], s[2:3], -v[153:154]
	v_add_f64_e32 v[96:97], v[155:156], v[96:97]
	v_mul_f64_e32 v[155:156], s[22:23], v[133:134]
	s_delay_alu instid0(VALU_DEP_1) | instskip(NEXT) | instid1(VALU_DEP_1)
	v_fma_f64 v[157:158], v[135:136], s[2:3], -v[155:156]
	v_add_f64_e32 v[98:99], v[157:158], v[98:99]
	v_mul_f64_e32 v[157:158], s[42:43], v[133:134]
	s_delay_alu instid0(VALU_DEP_1) | instskip(NEXT) | instid1(VALU_DEP_1)
	v_fma_f64 v[159:160], v[135:136], s[0:1], -v[157:158]
	v_add_f64_e32 v[96:97], v[159:160], v[96:97]
	v_mul_f64_e32 v[159:160], s[24:25], v[141:142]
	s_delay_alu instid0(VALU_DEP_1) | instskip(NEXT) | instid1(VALU_DEP_1)
	v_fma_f64 v[161:162], v[143:144], s[12:13], -v[159:160]
	v_add_f64_e32 v[98:99], v[161:162], v[98:99]
	v_mul_f64_e32 v[161:162], s[36:37], v[141:142]
	s_delay_alu instid0(VALU_DEP_1) | instskip(NEXT) | instid1(VALU_DEP_1)
	v_fma_f64 v[163:164], v[143:144], s[18:19], -v[161:162]
	v_add_f64_e32 v[96:97], v[163:164], v[96:97]
	ds_store_2addr_b64 v165, v[98:99], v[96:97] offset0:52 offset1:65
	v_mul_f64_e32 v[96:97], s[42:43], v[88:89]
	s_delay_alu instid0(VALU_DEP_1) | instskip(SKIP_1) | instid1(VALU_DEP_2)
	v_fma_f64 v[98:99], v[82:83], s[0:1], -v[96:97]
	v_fma_f64 v[96:97], v[82:83], s[0:1], v[96:97]
	v_add_f64_e32 v[94:95], v[98:99], v[94:95]
	s_delay_alu instid0(VALU_DEP_2) | instskip(SKIP_1) | instid1(VALU_DEP_1)
	v_add_f64_e32 v[92:93], v[96:97], v[92:93]
	v_mul_f64_e32 v[96:97], s[30:31], v[117:118]
	v_fma_f64 v[98:99], v[119:120], s[6:7], -v[96:97]
	v_fma_f64 v[96:97], v[119:120], s[6:7], v[96:97]
	s_delay_alu instid0(VALU_DEP_2) | instskip(NEXT) | instid1(VALU_DEP_2)
	v_add_f64_e32 v[94:95], v[98:99], v[94:95]
	v_add_f64_e32 v[92:93], v[96:97], v[92:93]
	v_mul_f64_e32 v[96:97], s[24:25], v[125:126]
	s_delay_alu instid0(VALU_DEP_1) | instskip(SKIP_1) | instid1(VALU_DEP_2)
	v_fma_f64 v[98:99], v[127:128], s[12:13], -v[96:97]
	v_fma_f64 v[96:97], v[127:128], s[12:13], v[96:97]
	v_add_f64_e32 v[94:95], v[98:99], v[94:95]
	s_delay_alu instid0(VALU_DEP_2) | instskip(SKIP_1) | instid1(VALU_DEP_1)
	v_add_f64_e32 v[92:93], v[96:97], v[92:93]
	v_mul_f64_e32 v[96:97], s[36:37], v[133:134]
	v_fma_f64 v[98:99], v[135:136], s[18:19], -v[96:97]
	v_fma_f64 v[96:97], v[135:136], s[18:19], v[96:97]
	s_delay_alu instid0(VALU_DEP_2) | instskip(NEXT) | instid1(VALU_DEP_2)
	v_add_f64_e32 v[94:95], v[98:99], v[94:95]
	v_add_f64_e32 v[92:93], v[96:97], v[92:93]
	v_mul_f64_e32 v[96:97], s[34:35], v[141:142]
	s_delay_alu instid0(VALU_DEP_1) | instskip(SKIP_1) | instid1(VALU_DEP_2)
	v_fma_f64 v[98:99], v[143:144], s[14:15], -v[96:97]
	v_fma_f64 v[96:97], v[143:144], s[14:15], v[96:97]
	v_add_f64_e32 v[94:95], v[98:99], v[94:95]
	s_delay_alu instid0(VALU_DEP_2) | instskip(SKIP_2) | instid1(VALU_DEP_1)
	v_add_f64_e32 v[92:93], v[96:97], v[92:93]
	ds_store_2addr_b64 v165, v[94:95], v[92:93] offset0:78 offset1:91
	v_fma_f64 v[92:93], v[82:83], s[6:7], v[109:110]
	v_add_f64_e32 v[84:85], v[92:93], v[84:85]
	v_fma_f64 v[92:93], v[82:83], s[14:15], v[111:112]
	s_delay_alu instid0(VALU_DEP_1) | instskip(SKIP_1) | instid1(VALU_DEP_1)
	v_add_f64_e32 v[86:87], v[92:93], v[86:87]
	v_fma_f64 v[92:93], v[119:120], s[0:1], v[113:114]
	v_add_f64_e32 v[84:85], v[92:93], v[84:85]
	v_fma_f64 v[92:93], v[119:120], s[12:13], v[149:150]
	s_delay_alu instid0(VALU_DEP_1) | instskip(SKIP_1) | instid1(VALU_DEP_1)
	v_add_f64_e32 v[86:87], v[92:93], v[86:87]
	;; [unrolled: 5-line block ×4, first 2 shown]
	v_fma_f64 v[92:93], v[143:144], s[12:13], v[159:160]
	v_add_f64_e32 v[84:85], v[92:93], v[84:85]
	v_fma_f64 v[92:93], v[143:144], s[18:19], v[161:162]
	s_delay_alu instid0(VALU_DEP_1) | instskip(SKIP_2) | instid1(VALU_DEP_1)
	v_add_f64_e32 v[86:87], v[92:93], v[86:87]
	ds_store_2addr_b64 v165, v[86:87], v[84:85] offset0:104 offset1:117
	v_fma_f64 v[84:85], v[82:83], s[18:19], v[90:91]
	v_add_f64_e32 v[78:79], v[84:85], v[78:79]
	v_fma_f64 v[84:85], v[82:83], s[2:3], v[115:116]
	s_delay_alu instid0(VALU_DEP_1) | instskip(SKIP_1) | instid1(VALU_DEP_1)
	v_add_f64_e32 v[80:81], v[84:85], v[80:81]
	v_fma_f64 v[84:85], v[119:120], s[2:3], v[121:122]
	v_add_f64_e32 v[78:79], v[84:85], v[78:79]
	v_fma_f64 v[84:85], v[119:120], s[18:19], v[123:124]
	s_delay_alu instid0(VALU_DEP_1) | instskip(SKIP_1) | instid1(VALU_DEP_1)
	v_add_f64_e32 v[80:81], v[84:85], v[80:81]
	;; [unrolled: 5-line block ×4, first 2 shown]
	v_fma_f64 v[84:85], v[143:144], s[0:1], v[145:146]
	v_add_f64_e32 v[78:79], v[84:85], v[78:79]
	v_fma_f64 v[84:85], v[143:144], s[6:7], v[147:148]
	s_delay_alu instid0(VALU_DEP_1) | instskip(SKIP_2) | instid1(VALU_DEP_1)
	v_add_f64_e32 v[80:81], v[84:85], v[80:81]
	ds_store_2addr_b64 v165, v[80:81], v[78:79] offset0:130 offset1:143
	v_mul_f64_e32 v[78:79], s[38:39], v[88:89]
	v_fma_f64 v[80:81], v[82:83], s[12:13], -v[78:79]
	s_delay_alu instid0(VALU_DEP_1) | instskip(SKIP_1) | instid1(VALU_DEP_1)
	v_add_f64_e32 v[76:77], v[80:81], v[76:77]
	v_mul_f64_e32 v[80:81], s[26:27], v[117:118]
	v_fma_f64 v[84:85], v[119:120], s[14:15], -v[80:81]
	v_fma_f64 v[6:7], v[119:120], s[14:15], v[80:81]
	s_delay_alu instid0(VALU_DEP_2) | instskip(SKIP_1) | instid1(VALU_DEP_1)
	v_add_f64_e32 v[76:77], v[84:85], v[76:77]
	v_mul_f64_e32 v[84:85], s[36:37], v[125:126]
	v_fma_f64 v[86:87], v[127:128], s[18:19], -v[84:85]
	v_fma_f64 v[28:29], v[127:128], s[18:19], v[84:85]
	s_delay_alu instid0(VALU_DEP_2) | instskip(SKIP_1) | instid1(VALU_DEP_1)
	;; [unrolled: 5-line block ×3, first 2 shown]
	v_add_f64_e32 v[76:77], v[88:89], v[76:77]
	v_mul_f64_e32 v[88:89], s[40:41], v[141:142]
	v_fma_f64 v[90:91], v[143:144], s[2:3], -v[88:89]
	v_fma_f64 v[40:41], v[143:144], s[2:3], v[88:89]
	s_delay_alu instid0(VALU_DEP_2) | instskip(SKIP_4) | instid1(VALU_DEP_3)
	v_add_f64_e32 v[76:77], v[90:91], v[76:77]
	ds_store_2addr_b64 v165, v[46:47], v[76:77] offset1:13
	v_fma_f64 v[46:47], v[82:83], s[12:13], v[78:79]
	v_add_f64_e32 v[76:77], v[12:13], v[8:9]
	v_mul_f64_e32 v[78:79], s[36:37], v[30:31]
	v_add_f64_e32 v[2:3], v[46:47], v[2:3]
	v_mul_f64_e32 v[46:47], s[38:39], v[24:25]
	s_delay_alu instid0(VALU_DEP_2) | instskip(NEXT) | instid1(VALU_DEP_2)
	v_add_f64_e32 v[2:3], v[6:7], v[2:3]
	v_fma_f64 v[16:17], v[42:43], s[12:13], v[46:47]
	v_add_f64_e32 v[6:7], v[10:11], v[44:45]
	v_add_f64_e32 v[44:45], v[20:21], v[22:23]
	v_fma_f64 v[46:47], v[42:43], s[12:13], -v[46:47]
	v_add_f64_e32 v[2:3], v[28:29], v[2:3]
	v_add_f64_e32 v[0:1], v[16:17], v[0:1]
	v_add_f64_e32 v[6:7], v[6:7], v[8:9]
	v_fma_f64 v[10:11], v[44:45], s[14:15], v[74:75]
	v_fma_f64 v[8:9], v[76:77], s[18:19], v[78:79]
	v_add_f64_e32 v[2:3], v[38:39], v[2:3]
	v_mul_f64_e32 v[38:39], s[30:31], v[34:35]
	v_add_f64_e32 v[6:7], v[6:7], v[22:23]
	v_add_f64_e32 v[0:1], v[10:11], v[0:1]
	s_delay_alu instid0(VALU_DEP_4) | instskip(SKIP_1) | instid1(VALU_DEP_4)
	v_add_f64_e32 v[2:3], v[40:41], v[2:3]
	v_mul_f64_e32 v[40:41], s[40:41], v[32:33]
	v_add_f64_e32 v[6:7], v[6:7], v[18:19]
	s_delay_alu instid0(VALU_DEP_4)
	v_add_f64_e32 v[0:1], v[8:9], v[0:1]
	v_fma_f64 v[8:9], v[72:73], s[6:7], v[38:39]
	v_fma_f64 v[38:39], v[72:73], s[6:7], -v[38:39]
	ds_store_b64 v165, v[2:3] offset:1248
	global_wb scope:SCOPE_SE
	s_wait_dscnt 0x0
	v_add_f64_e32 v[82:83], v[6:7], v[4:5]
	s_barrier_signal -1
	v_add_f64_e32 v[0:1], v[8:9], v[0:1]
	v_fma_f64 v[8:9], v[36:37], s[2:3], v[40:41]
	s_barrier_wait -1
	global_inv scope:SCOPE_SE
	v_fma_f64 v[40:41], v[36:37], s[2:3], -v[40:41]
	v_add_f64_e32 v[80:81], v[8:9], v[0:1]
	ds_load_b64 v[28:29], v103 offset:16224
	ds_load_2addr_b64 v[0:3], v103 offset1:169
	ds_load_2addr_b64 v[20:23], v104 offset0:82 offset1:251
	ds_load_2addr_b64 v[8:11], v105 offset0:36 offset1:205
	;; [unrolled: 1-line block ×5, first 2 shown]
	global_wb scope:SCOPE_SE
	s_wait_dscnt 0x0
	s_barrier_signal -1
	s_barrier_wait -1
	global_inv scope:SCOPE_SE
	ds_store_2addr_b64 v165, v[82:83], v[80:81] offset1:13
	v_mul_f64_e32 v[80:81], s[36:37], v[24:25]
	s_delay_alu instid0(VALU_DEP_1) | instskip(NEXT) | instid1(VALU_DEP_1)
	v_fma_f64 v[82:83], v[42:43], s[18:19], v[80:81]
	v_add_f64_e32 v[70:71], v[82:83], v[70:71]
	v_mul_f64_e32 v[82:83], s[40:41], v[24:25]
	s_delay_alu instid0(VALU_DEP_1) | instskip(NEXT) | instid1(VALU_DEP_1)
	v_fma_f64 v[84:85], v[42:43], s[2:3], v[82:83]
	v_add_f64_e32 v[68:69], v[84:85], v[68:69]
	;; [unrolled: 4-line block ×10, first 2 shown]
	ds_store_2addr_b64 v165, v[70:71], v[68:69] offset0:26 offset1:39
	v_mul_f64_e32 v[68:69], s[20:21], v[24:25]
	s_delay_alu instid0(VALU_DEP_1) | instskip(SKIP_1) | instid1(VALU_DEP_2)
	v_fma_f64 v[70:71], v[42:43], s[6:7], v[68:69]
	v_fma_f64 v[68:69], v[42:43], s[6:7], -v[68:69]
	v_add_f64_e32 v[66:67], v[70:71], v[66:67]
	v_mul_f64_e32 v[70:71], s[34:35], v[24:25]
	v_mul_f64_e32 v[24:25], s[42:43], v[24:25]
	s_delay_alu instid0(VALU_DEP_2) | instskip(SKIP_1) | instid1(VALU_DEP_2)
	v_fma_f64 v[103:104], v[42:43], s[14:15], v[70:71]
	v_fma_f64 v[70:71], v[42:43], s[14:15], -v[70:71]
	v_add_f64_e32 v[64:65], v[103:104], v[64:65]
	v_mul_f64_e32 v[103:104], s[42:43], v[26:27]
	s_delay_alu instid0(VALU_DEP_1) | instskip(NEXT) | instid1(VALU_DEP_1)
	v_fma_f64 v[105:106], v[44:45], s[0:1], v[103:104]
	v_add_f64_e32 v[66:67], v[105:106], v[66:67]
	v_mul_f64_e32 v[105:106], s[38:39], v[26:27]
	v_mul_f64_e32 v[26:27], s[30:31], v[26:27]
	s_delay_alu instid0(VALU_DEP_2) | instskip(NEXT) | instid1(VALU_DEP_1)
	v_fma_f64 v[107:108], v[44:45], s[12:13], v[105:106]
	v_add_f64_e32 v[64:65], v[107:108], v[64:65]
	v_mul_f64_e32 v[107:108], s[26:27], v[30:31]
	s_delay_alu instid0(VALU_DEP_1) | instskip(NEXT) | instid1(VALU_DEP_1)
	v_fma_f64 v[109:110], v[76:77], s[14:15], v[107:108]
	v_add_f64_e32 v[66:67], v[109:110], v[66:67]
	v_mul_f64_e32 v[109:110], s[22:23], v[30:31]
	v_mul_f64_e32 v[30:31], s[24:25], v[30:31]
	s_delay_alu instid0(VALU_DEP_2) | instskip(NEXT) | instid1(VALU_DEP_1)
	v_fma_f64 v[111:112], v[76:77], s[2:3], v[109:110]
	;; [unrolled: 9-line block ×4, first 2 shown]
	v_add_f64_e32 v[64:65], v[119:120], v[64:65]
	ds_store_2addr_b64 v165, v[66:67], v[64:65] offset0:52 offset1:65
	v_fma_f64 v[64:65], v[42:43], s[18:19], -v[80:81]
	v_fma_f64 v[80:81], v[42:43], s[0:1], v[24:25]
	v_fma_f64 v[24:25], v[42:43], s[0:1], -v[24:25]
	v_fma_f64 v[66:67], v[42:43], s[2:3], -v[82:83]
	;; [unrolled: 1-line block ×7, first 2 shown]
	v_fma_f64 v[103:104], v[44:45], s[6:7], v[26:27]
	v_fma_f64 v[26:27], v[44:45], s[6:7], -v[26:27]
	v_add_f64_e32 v[44:45], v[46:47], v[48:49]
	v_add_f64_e32 v[46:47], v[64:65], v[50:51]
	;; [unrolled: 1-line block ×7, first 2 shown]
	v_fma_f64 v[60:61], v[76:77], s[6:7], -v[88:89]
	v_fma_f64 v[64:65], v[76:77], s[14:15], -v[107:108]
	v_fma_f64 v[68:69], v[76:77], s[12:13], v[30:31]
	v_fma_f64 v[30:31], v[76:77], s[12:13], -v[30:31]
	v_fma_f64 v[66:67], v[76:77], s[2:3], -v[109:110]
	v_add_f64_e32 v[42:43], v[42:43], v[44:45]
	v_fma_f64 v[62:63], v[76:77], s[0:1], -v[90:91]
	v_fma_f64 v[58:59], v[76:77], s[18:19], -v[78:79]
	;; [unrolled: 1-line block ×3, first 2 shown]
	v_fma_f64 v[76:77], v[72:73], s[18:19], v[34:35]
	v_fma_f64 v[34:35], v[72:73], s[18:19], -v[34:35]
	v_add_f64_e32 v[44:45], v[74:75], v[46:47]
	v_add_f64_e32 v[46:47], v[84:85], v[50:51]
	;; [unrolled: 1-line block ×6, first 2 shown]
	v_fma_f64 v[54:55], v[72:73], s[14:15], -v[92:93]
	v_fma_f64 v[74:75], v[72:73], s[0:1], -v[113:114]
	v_fma_f64 v[56:57], v[72:73], s[12:13], -v[94:95]
	v_add_f64_e32 v[42:43], v[58:59], v[42:43]
	v_fma_f64 v[58:59], v[36:37], s[6:7], -v[98:99]
	v_add_f64_e32 v[44:45], v[60:61], v[44:45]
	v_add_f64_e32 v[46:47], v[64:65], v[46:47]
	;; [unrolled: 1-line block ×6, first 2 shown]
	v_fma_f64 v[48:49], v[36:37], s[0:1], -v[96:97]
	v_fma_f64 v[60:61], v[36:37], s[12:13], -v[115:116]
	v_fma_f64 v[62:63], v[36:37], s[18:19], -v[117:118]
	v_fma_f64 v[64:65], v[36:37], s[14:15], v[32:33]
	v_fma_f64 v[32:33], v[36:37], s[14:15], -v[32:33]
	v_add_f64_e32 v[36:37], v[54:55], v[44:45]
	v_add_f64_e32 v[44:45], v[70:71], v[46:47]
	;; [unrolled: 1-line block ×14, first 2 shown]
	ds_store_2addr_b64 v165, v[42:43], v[24:25] offset0:78 offset1:91
	ds_store_2addr_b64 v165, v[26:27], v[38:39] offset0:104 offset1:117
	;; [unrolled: 1-line block ×3, first 2 shown]
	ds_store_b64 v165, v[32:33] offset:1248
	global_wb scope:SCOPE_SE
	s_wait_dscnt 0x0
	s_barrier_signal -1
	s_barrier_wait -1
	global_inv scope:SCOPE_SE
	s_and_saveexec_b32 s33, vcc_lo
	s_cbranch_execz .LBB0_13
; %bb.12:
	v_mul_u32_u24_e32 v24, 12, v101
	v_mul_i32_i24_e32 v37, 0xffffffa0, v101
	v_add_nc_u32_e32 v85, 0xa9, v100
	v_add_nc_u32_e32 v99, 0x152, v100
	s_delay_alu instid0(VALU_DEP_4) | instskip(NEXT) | instid1(VALU_DEP_4)
	v_lshlrev_b32_e32 v32, 4, v24
	v_add_nc_u32_e32 v51, v102, v37
	s_clause 0x1
	global_load_b128 v[24:27], v32, s[4:5] offset:2528
	global_load_b128 v[33:36], v32, s[4:5] offset:2544
	v_add_nc_u32_e32 v37, 0x800, v51
	v_add_nc_u32_e32 v47, 0x3400, v51
	ds_load_2addr_b64 v[37:40], v37 offset0:82 offset1:251
	s_wait_loadcnt 0x1
	v_mul_f64_e32 v[30:31], v[22:23], v[26:27]
	s_wait_dscnt 0x0
	v_mul_f64_e32 v[26:27], v[39:40], v[26:27]
	s_delay_alu instid0(VALU_DEP_2) | instskip(NEXT) | instid1(VALU_DEP_2)
	v_fma_f64 v[30:31], v[39:40], v[24:25], v[30:31]
	v_fma_f64 v[22:23], v[22:23], v[24:25], -v[26:27]
	s_clause 0x1
	global_load_b128 v[24:27], v32, s[4:5] offset:2512
	global_load_b128 v[39:42], v32, s[4:5] offset:2496
	s_wait_loadcnt 0x1
	v_mul_f64_e32 v[43:44], v[20:21], v[26:27]
	v_mul_f64_e32 v[26:27], v[37:38], v[26:27]
	s_delay_alu instid0(VALU_DEP_2) | instskip(NEXT) | instid1(VALU_DEP_2)
	v_fma_f64 v[62:63], v[37:38], v[24:25], v[43:44]
	v_fma_f64 v[20:21], v[20:21], v[24:25], -v[26:27]
	s_clause 0x1
	global_load_b128 v[24:27], v32, s[4:5] offset:2640
	global_load_b128 v[43:46], v32, s[4:5] offset:2624
	ds_load_2addr_b64 v[47:50], v47 offset0:26 offset1:195
	s_wait_loadcnt 0x1
	v_mul_f64_e32 v[37:38], v[16:17], v[26:27]
	s_wait_dscnt 0x0
	v_mul_f64_e32 v[26:27], v[47:48], v[26:27]
	s_delay_alu instid0(VALU_DEP_2) | instskip(NEXT) | instid1(VALU_DEP_2)
	v_fma_f64 v[37:38], v[47:48], v[24:25], v[37:38]
	v_fma_f64 v[64:65], v[16:17], v[24:25], -v[26:27]
	s_clause 0x1
	global_load_b128 v[24:27], v32, s[4:5] offset:2656
	global_load_b128 v[54:57], v32, s[4:5] offset:2672
	v_add_nc_u32_e32 v47, 0x1e00, v51
	s_wait_loadcnt 0x1
	v_mul_f64_e32 v[16:17], v[18:19], v[26:27]
	s_delay_alu instid0(VALU_DEP_1) | instskip(SKIP_1) | instid1(VALU_DEP_1)
	v_fma_f64 v[66:67], v[49:50], v[24:25], v[16:17]
	v_mul_f64_e32 v[16:17], v[49:50], v[26:27]
	v_fma_f64 v[68:69], v[18:19], v[24:25], -v[16:17]
	s_clause 0x1
	global_load_b128 v[16:19], v32, s[4:5] offset:2576
	global_load_b128 v[24:27], v32, s[4:5] offset:2560
	ds_load_2addr_b64 v[47:50], v47 offset0:54 offset1:223
	s_wait_loadcnt 0x1
	v_mul_f64_e32 v[58:59], v[12:13], v[18:19]
	s_wait_dscnt 0x0
	v_mul_f64_e32 v[18:19], v[47:48], v[18:19]
	s_delay_alu instid0(VALU_DEP_2) | instskip(NEXT) | instid1(VALU_DEP_2)
	v_fma_f64 v[70:71], v[47:48], v[16:17], v[58:59]
	v_fma_f64 v[47:48], v[12:13], v[16:17], -v[18:19]
	s_clause 0x1
	global_load_b128 v[16:19], v32, s[4:5] offset:2592
	global_load_b128 v[58:61], v32, s[4:5] offset:2608
	s_wait_loadcnt 0x1
	v_mul_f64_e32 v[12:13], v[14:15], v[18:19]
	s_delay_alu instid0(VALU_DEP_1) | instskip(SKIP_3) | instid1(VALU_DEP_3)
	v_fma_f64 v[72:73], v[49:50], v[16:17], v[12:13]
	v_mul_f64_e32 v[12:13], v[49:50], v[18:19]
	v_mul_f64_e32 v[18:19], v[8:9], v[35:36]
	v_add_f64_e64 v[49:50], v[62:63], -v[66:67]
	v_fma_f64 v[16:17], v[14:15], v[16:17], -v[12:13]
	v_add_nc_u32_e32 v12, 0x1400, v51
	s_delay_alu instid0(VALU_DEP_3)
	v_mul_f64_e32 v[89:90], s[36:37], v[49:50]
	v_mul_f64_e32 v[115:116], s[40:41], v[49:50]
	v_mul_f64_e32 v[139:140], s[20:21], v[49:50]
	v_mul_f64_e32 v[163:164], s[34:35], v[49:50]
	ds_load_2addr_b64 v[12:15], v12 offset0:36 offset1:205
	s_wait_dscnt 0x0
	v_fma_f64 v[18:19], v[12:13], v[33:34], v[18:19]
	v_mul_f64_e32 v[12:13], v[12:13], v[35:36]
	s_delay_alu instid0(VALU_DEP_1) | instskip(SKIP_1) | instid1(VALU_DEP_1)
	v_fma_f64 v[12:13], v[8:9], v[33:34], -v[12:13]
	v_mul_f64_e32 v[8:9], v[10:11], v[26:27]
	v_fma_f64 v[32:33], v[14:15], v[24:25], v[8:9]
	v_mul_f64_e32 v[8:9], v[14:15], v[26:27]
	s_delay_alu instid0(VALU_DEP_1)
	v_fma_f64 v[14:15], v[10:11], v[24:25], -v[8:9]
	v_mul_f64_e32 v[24:25], v[6:7], v[45:46]
	v_add_nc_u32_e32 v8, 0x2800, v51
	ds_load_2addr_b64 v[8:11], v8 offset0:72 offset1:241
	s_wait_dscnt 0x0
	v_fma_f64 v[24:25], v[10:11], v[43:44], v[24:25]
	v_mul_f64_e32 v[10:11], v[10:11], v[45:46]
	s_delay_alu instid0(VALU_DEP_1) | instskip(SKIP_2) | instid1(VALU_DEP_1)
	v_fma_f64 v[10:11], v[6:7], v[43:44], -v[10:11]
	s_wait_loadcnt 0x0
	v_mul_f64_e32 v[6:7], v[4:5], v[60:61]
	v_fma_f64 v[26:27], v[8:9], v[58:59], v[6:7]
	v_mul_f64_e32 v[6:7], v[8:9], v[60:61]
	v_mul_f64_e32 v[8:9], v[2:3], v[41:42]
	s_delay_alu instid0(VALU_DEP_2)
	v_fma_f64 v[34:35], v[4:5], v[58:59], -v[6:7]
	v_mul_f64_e32 v[4:5], v[28:29], v[56:57]
	ds_load_b64 v[6:7], v51 offset:16224
	v_add_f64_e32 v[59:60], v[32:33], v[26:27]
	s_wait_dscnt 0x0
	v_fma_f64 v[43:44], v[6:7], v[54:55], v[4:5]
	v_mul_f64_e32 v[4:5], v[6:7], v[56:57]
	v_add_f64_e64 v[57:58], v[20:21], -v[68:69]
	s_delay_alu instid0(VALU_DEP_2)
	v_fma_f64 v[28:29], v[28:29], v[54:55], -v[4:5]
	ds_load_2addr_b64 v[4:7], v51 offset1:169
	v_add_f64_e64 v[55:56], v[22:23], -v[64:65]
	s_wait_dscnt 0x0
	v_fma_f64 v[45:46], v[6:7], v[39:40], v[8:9]
	v_mul_f64_e32 v[6:7], v[6:7], v[41:42]
	v_mad_co_u64_u32 v[41:42], null, s8, v100, 0
	s_delay_alu instid0(VALU_DEP_2) | instskip(NEXT) | instid1(VALU_DEP_4)
	v_fma_f64 v[39:40], v[2:3], v[39:40], -v[6:7]
	v_add_f64_e32 v[2:3], v[4:5], v[45:46]
	s_delay_alu instid0(VALU_DEP_2) | instskip(NEXT) | instid1(VALU_DEP_2)
	v_add_f64_e32 v[6:7], v[0:1], v[39:40]
	v_add_f64_e32 v[2:3], v[62:63], v[2:3]
	s_delay_alu instid0(VALU_DEP_2) | instskip(NEXT) | instid1(VALU_DEP_2)
	v_add_f64_e32 v[6:7], v[20:21], v[6:7]
	v_add_f64_e32 v[2:3], v[30:31], v[2:3]
	;; [unrolled: 1-line block ×3, first 2 shown]
	s_delay_alu instid0(VALU_DEP_3) | instskip(NEXT) | instid1(VALU_DEP_3)
	v_add_f64_e32 v[6:7], v[22:23], v[6:7]
	v_add_f64_e32 v[2:3], v[18:19], v[2:3]
	;; [unrolled: 1-line block ×3, first 2 shown]
	s_delay_alu instid0(VALU_DEP_4)
	v_fma_f64 v[91:92], v[20:21], s[18:19], -v[89:90]
	v_fma_f64 v[117:118], v[20:21], s[2:3], -v[115:116]
	;; [unrolled: 1-line block ×4, first 2 shown]
	v_add_f64_e32 v[6:7], v[12:13], v[6:7]
	v_add_f64_e32 v[2:3], v[32:33], v[2:3]
	s_delay_alu instid0(VALU_DEP_2) | instskip(NEXT) | instid1(VALU_DEP_2)
	v_add_f64_e32 v[6:7], v[14:15], v[6:7]
	v_add_f64_e32 v[2:3], v[70:71], v[2:3]
	s_delay_alu instid0(VALU_DEP_2) | instskip(NEXT) | instid1(VALU_DEP_2)
	;; [unrolled: 3-line block ×3, first 2 shown]
	v_add_f64_e32 v[6:7], v[16:17], v[6:7]
	v_add_f64_e32 v[2:3], v[26:27], v[2:3]
	v_add_f64_e64 v[26:27], v[32:33], -v[26:27]
	v_add_f64_e64 v[32:33], v[47:48], -v[16:17]
	v_add_f64_e32 v[47:48], v[47:48], v[16:17]
	v_add_f64_e32 v[6:7], v[34:35], v[6:7]
	;; [unrolled: 1-line block ×3, first 2 shown]
	s_delay_alu instid0(VALU_DEP_2) | instskip(NEXT) | instid1(VALU_DEP_2)
	v_add_f64_e32 v[6:7], v[10:11], v[6:7]
	v_add_f64_e32 v[2:3], v[37:38], v[2:3]
	s_delay_alu instid0(VALU_DEP_2) | instskip(NEXT) | instid1(VALU_DEP_2)
	v_add_f64_e32 v[6:7], v[64:65], v[6:7]
	v_add_f64_e32 v[2:3], v[66:67], v[2:3]
	;; [unrolled: 3-line block ×3, first 2 shown]
	v_mov_b32_e32 v2, v42
	s_delay_alu instid0(VALU_DEP_1) | instskip(NEXT) | instid1(VALU_DEP_1)
	v_mad_co_u64_u32 v[2:3], null, s9, v100, v[2:3]
	v_mov_b32_e32 v42, v2
	v_add_co_u32 v2, vcc_lo, s10, v52
	v_add_f64_e32 v[51:52], v[45:46], v[43:44]
	s_wait_alu 0xfffd
	v_add_co_ci_u32_e32 v3, vcc_lo, s11, v53, vcc_lo
	v_lshlrev_b64_e32 v[41:42], 4, v[41:42]
	v_add_f64_e64 v[43:44], v[45:46], -v[43:44]
	v_add_f64_e64 v[45:46], v[12:13], -v[10:11]
	v_add_f64_e32 v[53:54], v[12:13], v[10:11]
	v_add_f64_e64 v[10:11], v[39:40], -v[28:29]
	v_add_f64_e32 v[12:13], v[39:40], v[28:29]
	v_add_co_u32 v41, vcc_lo, v2, v41
	s_wait_alu 0xfffd
	v_add_co_ci_u32_e32 v42, vcc_lo, v3, v42, vcc_lo
	v_add_f64_e32 v[6:7], v[28:29], v[6:7]
	v_add_f64_e32 v[28:29], v[70:71], v[72:73]
	v_mul_f64_e32 v[16:17], s[16:17], v[43:44]
	v_mul_f64_e32 v[87:88], s[38:39], v[43:44]
	;; [unrolled: 1-line block ×5, first 2 shown]
	global_store_b128 v[41:42], v[6:9], off
	v_add_f64_e32 v[41:42], v[18:19], v[24:25]
	v_add_f64_e64 v[18:19], v[18:19], -v[24:25]
	v_add_f64_e32 v[24:25], v[30:31], v[37:38]
	v_add_f64_e64 v[30:31], v[30:31], -v[37:38]
	;; [unrolled: 2-line block ×3, first 2 shown]
	v_add_f64_e32 v[34:35], v[14:15], v[34:35]
	v_mul_f64_e32 v[14:15], s[0:1], v[51:52]
	v_mul_f64_e32 v[65:66], s[38:39], v[49:50]
	v_add_f64_e64 v[38:39], v[70:71], -v[72:73]
	v_mul_f64_e32 v[81:82], s[2:3], v[28:29]
	v_mul_f64_e32 v[107:108], s[0:1], v[28:29]
	;; [unrolled: 1-line block ×7, first 2 shown]
	v_fma_f64 v[6:7], v[10:11], s[16:17], v[14:15]
	v_fma_f64 v[67:68], v[20:21], s[12:13], -v[65:66]
	v_mul_f64_e32 v[83:84], s[40:41], v[38:39]
	v_mul_f64_e32 v[109:110], s[42:43], v[38:39]
	;; [unrolled: 1-line block ×6, first 2 shown]
	v_fma_f64 v[8:9], v[57:58], s[38:39], v[63:64]
	v_add_f64_e32 v[6:7], v[4:5], v[6:7]
	s_delay_alu instid0(VALU_DEP_1) | instskip(SKIP_1) | instid1(VALU_DEP_1)
	v_add_f64_e32 v[6:7], v[8:9], v[6:7]
	v_fma_f64 v[8:9], v[12:13], s[0:1], -v[16:17]
	v_add_f64_e32 v[8:9], v[0:1], v[8:9]
	s_delay_alu instid0(VALU_DEP_1) | instskip(SKIP_1) | instid1(VALU_DEP_1)
	v_add_f64_e32 v[8:9], v[67:68], v[8:9]
	v_mul_f64_e32 v[67:68], s[14:15], v[24:25]
	v_fma_f64 v[69:70], v[55:56], s[26:27], v[67:68]
	s_delay_alu instid0(VALU_DEP_1) | instskip(SKIP_1) | instid1(VALU_DEP_1)
	v_add_f64_e32 v[6:7], v[69:70], v[6:7]
	v_mul_f64_e32 v[69:70], s[26:27], v[30:31]
	v_fma_f64 v[71:72], v[22:23], s[14:15], -v[69:70]
	s_delay_alu instid0(VALU_DEP_1) | instskip(SKIP_1) | instid1(VALU_DEP_1)
	v_add_f64_e32 v[8:9], v[71:72], v[8:9]
	v_mul_f64_e32 v[71:72], s[18:19], v[41:42]
	v_fma_f64 v[73:74], v[45:46], s[36:37], v[71:72]
	s_delay_alu instid0(VALU_DEP_1) | instskip(SKIP_1) | instid1(VALU_DEP_1)
	v_add_f64_e32 v[6:7], v[73:74], v[6:7]
	v_mul_f64_e32 v[73:74], s[36:37], v[18:19]
	v_fma_f64 v[75:76], v[53:54], s[18:19], -v[73:74]
	;; [unrolled: 8-line block ×3, first 2 shown]
	s_delay_alu instid0(VALU_DEP_1) | instskip(SKIP_1) | instid1(VALU_DEP_1)
	v_add_f64_e32 v[79:80], v[79:80], v[8:9]
	v_fma_f64 v[8:9], v[32:33], s[40:41], v[81:82]
	v_add_f64_e32 v[8:9], v[8:9], v[6:7]
	v_fma_f64 v[6:7], v[47:48], s[2:3], -v[83:84]
	s_delay_alu instid0(VALU_DEP_1) | instskip(SKIP_1) | instid1(VALU_DEP_1)
	v_add_f64_e32 v[6:7], v[6:7], v[79:80]
	v_mad_co_u64_u32 v[79:80], null, s8, v85, 0
	v_mov_b32_e32 v40, v80
	s_delay_alu instid0(VALU_DEP_1) | instskip(NEXT) | instid1(VALU_DEP_1)
	v_mad_co_u64_u32 v[85:86], null, s9, v85, v[40:41]
	v_mov_b32_e32 v80, v85
	v_mul_f64_e32 v[85:86], s[18:19], v[36:37]
	s_delay_alu instid0(VALU_DEP_2) | instskip(NEXT) | instid1(VALU_DEP_1)
	v_lshlrev_b64_e32 v[79:80], 4, v[79:80]
	v_add_co_u32 v79, vcc_lo, v2, v79
	s_wait_alu 0xfffd
	s_delay_alu instid0(VALU_DEP_2) | instskip(SKIP_3) | instid1(VALU_DEP_2)
	v_add_co_ci_u32_e32 v80, vcc_lo, v3, v80, vcc_lo
	global_store_b128 v[79:80], v[6:9], off
	v_mul_f64_e32 v[79:80], s[12:13], v[51:52]
	v_fma_f64 v[8:9], v[57:58], s[36:37], v[85:86]
	v_fma_f64 v[6:7], v[10:11], s[38:39], v[79:80]
	;; [unrolled: 1-line block ×3, first 2 shown]
	s_delay_alu instid0(VALU_DEP_2) | instskip(NEXT) | instid1(VALU_DEP_2)
	v_add_f64_e32 v[6:7], v[4:5], v[6:7]
	v_add_f64_e32 v[79:80], v[4:5], v[79:80]
	s_delay_alu instid0(VALU_DEP_2) | instskip(SKIP_2) | instid1(VALU_DEP_2)
	v_add_f64_e32 v[6:7], v[8:9], v[6:7]
	v_fma_f64 v[8:9], v[12:13], s[12:13], -v[87:88]
	v_fma_f64 v[87:88], v[12:13], s[12:13], v[87:88]
	v_add_f64_e32 v[8:9], v[0:1], v[8:9]
	s_delay_alu instid0(VALU_DEP_2) | instskip(NEXT) | instid1(VALU_DEP_2)
	v_add_f64_e32 v[87:88], v[0:1], v[87:88]
	v_add_f64_e32 v[8:9], v[91:92], v[8:9]
	v_mul_f64_e32 v[91:92], s[2:3], v[24:25]
	s_delay_alu instid0(VALU_DEP_1) | instskip(NEXT) | instid1(VALU_DEP_1)
	v_fma_f64 v[93:94], v[55:56], s[40:41], v[91:92]
	v_add_f64_e32 v[6:7], v[93:94], v[6:7]
	v_mul_f64_e32 v[93:94], s[40:41], v[30:31]
	s_delay_alu instid0(VALU_DEP_1) | instskip(NEXT) | instid1(VALU_DEP_1)
	v_fma_f64 v[95:96], v[22:23], s[2:3], -v[93:94]
	v_add_f64_e32 v[8:9], v[95:96], v[8:9]
	v_mul_f64_e32 v[95:96], s[6:7], v[41:42]
	s_delay_alu instid0(VALU_DEP_1) | instskip(NEXT) | instid1(VALU_DEP_1)
	v_fma_f64 v[97:98], v[45:46], s[20:21], v[95:96]
	v_add_f64_e32 v[6:7], v[97:98], v[6:7]
	v_mul_f64_e32 v[97:98], s[20:21], v[18:19]
	s_delay_alu instid0(VALU_DEP_1) | instskip(NEXT) | instid1(VALU_DEP_1)
	v_fma_f64 v[101:102], v[53:54], s[6:7], -v[97:98]
	;; [unrolled: 8-line block ×3, first 2 shown]
	v_add_f64_e32 v[105:106], v[105:106], v[8:9]
	v_fma_f64 v[8:9], v[32:33], s[42:43], v[107:108]
	s_delay_alu instid0(VALU_DEP_1) | instskip(SKIP_1) | instid1(VALU_DEP_1)
	v_add_f64_e32 v[8:9], v[8:9], v[6:7]
	v_fma_f64 v[6:7], v[47:48], s[0:1], -v[109:110]
	v_add_f64_e32 v[6:7], v[6:7], v[105:106]
	v_mad_co_u64_u32 v[105:106], null, s8, v99, 0
	s_delay_alu instid0(VALU_DEP_1) | instskip(NEXT) | instid1(VALU_DEP_1)
	v_mov_b32_e32 v40, v106
	v_mad_co_u64_u32 v[111:112], null, s9, v99, v[40:41]
	s_delay_alu instid0(VALU_DEP_1) | instskip(SKIP_1) | instid1(VALU_DEP_2)
	v_dual_mov_b32 v106, v111 :: v_dual_add_nc_u32 v99, 0x1fb, v100
	v_mul_f64_e32 v[111:112], s[2:3], v[36:37]
	v_lshlrev_b64_e32 v[105:106], 4, v[105:106]
	s_delay_alu instid0(VALU_DEP_1) | instskip(SKIP_1) | instid1(VALU_DEP_2)
	v_add_co_u32 v105, vcc_lo, v2, v105
	s_wait_alu 0xfffd
	v_add_co_ci_u32_e32 v106, vcc_lo, v3, v106, vcc_lo
	global_store_b128 v[105:106], v[6:9], off
	v_mul_f64_e32 v[105:106], s[14:15], v[51:52]
	v_fma_f64 v[8:9], v[57:58], s[40:41], v[111:112]
	s_delay_alu instid0(VALU_DEP_2) | instskip(SKIP_1) | instid1(VALU_DEP_2)
	v_fma_f64 v[6:7], v[10:11], s[26:27], v[105:106]
	v_fma_f64 v[105:106], v[10:11], s[34:35], v[105:106]
	v_add_f64_e32 v[6:7], v[4:5], v[6:7]
	s_delay_alu instid0(VALU_DEP_2) | instskip(NEXT) | instid1(VALU_DEP_2)
	v_add_f64_e32 v[105:106], v[4:5], v[105:106]
	v_add_f64_e32 v[6:7], v[8:9], v[6:7]
	v_fma_f64 v[8:9], v[12:13], s[14:15], -v[113:114]
	v_fma_f64 v[113:114], v[12:13], s[14:15], v[113:114]
	s_delay_alu instid0(VALU_DEP_2) | instskip(NEXT) | instid1(VALU_DEP_2)
	v_add_f64_e32 v[8:9], v[0:1], v[8:9]
	v_add_f64_e32 v[113:114], v[0:1], v[113:114]
	s_delay_alu instid0(VALU_DEP_2) | instskip(SKIP_1) | instid1(VALU_DEP_1)
	v_add_f64_e32 v[8:9], v[117:118], v[8:9]
	v_mul_f64_e32 v[117:118], s[18:19], v[24:25]
	v_fma_f64 v[119:120], v[55:56], s[28:29], v[117:118]
	s_delay_alu instid0(VALU_DEP_1) | instskip(SKIP_1) | instid1(VALU_DEP_1)
	v_add_f64_e32 v[6:7], v[119:120], v[6:7]
	v_mul_f64_e32 v[119:120], s[28:29], v[30:31]
	v_fma_f64 v[121:122], v[22:23], s[18:19], -v[119:120]
	s_delay_alu instid0(VALU_DEP_1) | instskip(SKIP_1) | instid1(VALU_DEP_1)
	v_add_f64_e32 v[8:9], v[121:122], v[8:9]
	v_mul_f64_e32 v[121:122], s[0:1], v[41:42]
	v_fma_f64 v[123:124], v[45:46], s[42:43], v[121:122]
	s_delay_alu instid0(VALU_DEP_1) | instskip(SKIP_1) | instid1(VALU_DEP_1)
	v_add_f64_e32 v[6:7], v[123:124], v[6:7]
	v_mul_f64_e32 v[123:124], s[42:43], v[18:19]
	v_fma_f64 v[125:126], v[53:54], s[0:1], -v[123:124]
	s_delay_alu instid0(VALU_DEP_1) | instskip(SKIP_1) | instid1(VALU_DEP_1)
	v_add_f64_e32 v[8:9], v[125:126], v[8:9]
	v_mul_f64_e32 v[125:126], s[12:13], v[59:60]
	v_fma_f64 v[127:128], v[61:62], s[38:39], v[125:126]
	s_delay_alu instid0(VALU_DEP_1) | instskip(SKIP_1) | instid1(VALU_DEP_1)
	v_add_f64_e32 v[6:7], v[127:128], v[6:7]
	v_mul_f64_e32 v[127:128], s[38:39], v[26:27]
	v_fma_f64 v[129:130], v[34:35], s[12:13], -v[127:128]
	s_delay_alu instid0(VALU_DEP_1) | instskip(SKIP_1) | instid1(VALU_DEP_1)
	v_add_f64_e32 v[129:130], v[129:130], v[8:9]
	v_fma_f64 v[8:9], v[32:33], s[30:31], v[131:132]
	v_add_f64_e32 v[8:9], v[8:9], v[6:7]
	v_fma_f64 v[6:7], v[47:48], s[6:7], -v[133:134]
	s_delay_alu instid0(VALU_DEP_1) | instskip(SKIP_1) | instid1(VALU_DEP_1)
	v_add_f64_e32 v[6:7], v[6:7], v[129:130]
	v_mad_co_u64_u32 v[129:130], null, s8, v99, 0
	v_mov_b32_e32 v40, v130
	s_delay_alu instid0(VALU_DEP_1) | instskip(NEXT) | instid1(VALU_DEP_1)
	v_mad_co_u64_u32 v[135:136], null, s9, v99, v[40:41]
	v_dual_mov_b32 v130, v135 :: v_dual_add_nc_u32 v99, 0x2a4, v100
	v_mul_f64_e32 v[135:136], s[6:7], v[36:37]
	s_delay_alu instid0(VALU_DEP_2) | instskip(NEXT) | instid1(VALU_DEP_1)
	v_lshlrev_b64_e32 v[129:130], 4, v[129:130]
	v_add_co_u32 v129, vcc_lo, v2, v129
	s_wait_alu 0xfffd
	s_delay_alu instid0(VALU_DEP_2) | instskip(SKIP_3) | instid1(VALU_DEP_2)
	v_add_co_ci_u32_e32 v130, vcc_lo, v3, v130, vcc_lo
	global_store_b128 v[129:130], v[6:9], off
	v_mul_f64_e32 v[129:130], s[18:19], v[51:52]
	v_fma_f64 v[8:9], v[57:58], s[20:21], v[135:136]
	v_fma_f64 v[6:7], v[10:11], s[36:37], v[129:130]
	;; [unrolled: 1-line block ×3, first 2 shown]
	s_delay_alu instid0(VALU_DEP_2) | instskip(NEXT) | instid1(VALU_DEP_2)
	v_add_f64_e32 v[6:7], v[4:5], v[6:7]
	v_add_f64_e32 v[129:130], v[4:5], v[129:130]
	s_delay_alu instid0(VALU_DEP_2) | instskip(SKIP_1) | instid1(VALU_DEP_1)
	v_add_f64_e32 v[6:7], v[8:9], v[6:7]
	v_fma_f64 v[8:9], v[12:13], s[18:19], -v[137:138]
	v_add_f64_e32 v[8:9], v[0:1], v[8:9]
	s_delay_alu instid0(VALU_DEP_1) | instskip(SKIP_1) | instid1(VALU_DEP_1)
	v_add_f64_e32 v[8:9], v[141:142], v[8:9]
	v_mul_f64_e32 v[141:142], s[0:1], v[24:25]
	v_fma_f64 v[143:144], v[55:56], s[42:43], v[141:142]
	s_delay_alu instid0(VALU_DEP_1) | instskip(SKIP_1) | instid1(VALU_DEP_1)
	v_add_f64_e32 v[6:7], v[143:144], v[6:7]
	v_mul_f64_e32 v[143:144], s[42:43], v[30:31]
	v_fma_f64 v[145:146], v[22:23], s[0:1], -v[143:144]
	s_delay_alu instid0(VALU_DEP_1) | instskip(SKIP_1) | instid1(VALU_DEP_1)
	v_add_f64_e32 v[8:9], v[145:146], v[8:9]
	v_mul_f64_e32 v[145:146], s[14:15], v[41:42]
	v_fma_f64 v[147:148], v[45:46], s[26:27], v[145:146]
	s_delay_alu instid0(VALU_DEP_1) | instskip(SKIP_1) | instid1(VALU_DEP_1)
	v_add_f64_e32 v[6:7], v[147:148], v[6:7]
	v_mul_f64_e32 v[147:148], s[26:27], v[18:19]
	v_fma_f64 v[149:150], v[53:54], s[14:15], -v[147:148]
	;; [unrolled: 8-line block ×3, first 2 shown]
	s_delay_alu instid0(VALU_DEP_1) | instskip(SKIP_1) | instid1(VALU_DEP_1)
	v_add_f64_e32 v[153:154], v[153:154], v[8:9]
	v_fma_f64 v[8:9], v[32:33], s[24:25], v[155:156]
	v_add_f64_e32 v[8:9], v[8:9], v[6:7]
	v_fma_f64 v[6:7], v[47:48], s[12:13], -v[157:158]
	s_delay_alu instid0(VALU_DEP_1) | instskip(SKIP_1) | instid1(VALU_DEP_1)
	v_add_f64_e32 v[6:7], v[6:7], v[153:154]
	v_mad_co_u64_u32 v[153:154], null, s8, v99, 0
	v_mov_b32_e32 v40, v154
	s_delay_alu instid0(VALU_DEP_1) | instskip(NEXT) | instid1(VALU_DEP_1)
	v_mad_co_u64_u32 v[159:160], null, s9, v99, v[40:41]
	v_dual_mov_b32 v154, v159 :: v_dual_add_nc_u32 v99, 0x34d, v100
	v_mul_f64_e32 v[159:160], s[14:15], v[36:37]
	s_delay_alu instid0(VALU_DEP_2) | instskip(NEXT) | instid1(VALU_DEP_1)
	v_lshlrev_b64_e32 v[153:154], 4, v[153:154]
	v_add_co_u32 v153, vcc_lo, v2, v153
	s_wait_alu 0xfffd
	s_delay_alu instid0(VALU_DEP_2) | instskip(SKIP_3) | instid1(VALU_DEP_2)
	v_add_co_ci_u32_e32 v154, vcc_lo, v3, v154, vcc_lo
	global_store_b128 v[153:154], v[6:9], off
	v_mul_f64_e32 v[153:154], s[6:7], v[51:52]
	v_fma_f64 v[8:9], v[57:58], s[34:35], v[159:160]
	v_fma_f64 v[6:7], v[10:11], s[30:31], v[153:154]
	s_delay_alu instid0(VALU_DEP_1) | instskip(NEXT) | instid1(VALU_DEP_1)
	v_add_f64_e32 v[6:7], v[4:5], v[6:7]
	v_add_f64_e32 v[6:7], v[8:9], v[6:7]
	v_fma_f64 v[8:9], v[12:13], s[6:7], -v[161:162]
	s_delay_alu instid0(VALU_DEP_1) | instskip(NEXT) | instid1(VALU_DEP_1)
	v_add_f64_e32 v[8:9], v[0:1], v[8:9]
	v_add_f64_e32 v[8:9], v[165:166], v[8:9]
	v_mul_f64_e32 v[165:166], s[12:13], v[24:25]
	s_delay_alu instid0(VALU_DEP_1) | instskip(NEXT) | instid1(VALU_DEP_1)
	v_fma_f64 v[167:168], v[55:56], s[38:39], v[165:166]
	v_add_f64_e32 v[6:7], v[167:168], v[6:7]
	v_mul_f64_e32 v[167:168], s[38:39], v[30:31]
	s_delay_alu instid0(VALU_DEP_1) | instskip(NEXT) | instid1(VALU_DEP_1)
	v_fma_f64 v[169:170], v[22:23], s[12:13], -v[167:168]
	v_add_f64_e32 v[8:9], v[169:170], v[8:9]
	v_mul_f64_e32 v[169:170], s[2:3], v[41:42]
	s_delay_alu instid0(VALU_DEP_1) | instskip(NEXT) | instid1(VALU_DEP_1)
	v_fma_f64 v[171:172], v[45:46], s[22:23], v[169:170]
	v_add_f64_e32 v[6:7], v[171:172], v[6:7]
	v_mul_f64_e32 v[171:172], s[22:23], v[18:19]
	v_mul_f64_e32 v[18:19], s[24:25], v[18:19]
	s_delay_alu instid0(VALU_DEP_2) | instskip(NEXT) | instid1(VALU_DEP_1)
	v_fma_f64 v[173:174], v[53:54], s[2:3], -v[171:172]
	v_add_f64_e32 v[8:9], v[173:174], v[8:9]
	v_mul_f64_e32 v[173:174], s[0:1], v[59:60]
	s_delay_alu instid0(VALU_DEP_1) | instskip(NEXT) | instid1(VALU_DEP_1)
	v_fma_f64 v[175:176], v[61:62], s[42:43], v[173:174]
	v_add_f64_e32 v[6:7], v[175:176], v[6:7]
	v_mul_f64_e32 v[175:176], s[42:43], v[26:27]
	v_mul_f64_e32 v[26:27], s[36:37], v[26:27]
	s_delay_alu instid0(VALU_DEP_2) | instskip(NEXT) | instid1(VALU_DEP_1)
	v_fma_f64 v[177:178], v[34:35], s[0:1], -v[175:176]
	v_add_f64_e32 v[177:178], v[177:178], v[8:9]
	v_fma_f64 v[8:9], v[32:33], s[36:37], v[179:180]
	s_delay_alu instid0(VALU_DEP_1) | instskip(SKIP_1) | instid1(VALU_DEP_1)
	v_add_f64_e32 v[8:9], v[8:9], v[6:7]
	v_fma_f64 v[6:7], v[47:48], s[18:19], -v[181:182]
	v_add_f64_e32 v[6:7], v[6:7], v[177:178]
	v_mad_co_u64_u32 v[177:178], null, s8, v99, 0
	s_delay_alu instid0(VALU_DEP_1) | instskip(NEXT) | instid1(VALU_DEP_1)
	v_mov_b32_e32 v40, v178
	v_mad_co_u64_u32 v[183:184], null, s9, v99, v[40:41]
	s_delay_alu instid0(VALU_DEP_1) | instskip(NEXT) | instid1(VALU_DEP_1)
	v_mov_b32_e32 v178, v183
	v_lshlrev_b64_e32 v[177:178], 4, v[177:178]
	s_delay_alu instid0(VALU_DEP_1) | instskip(SKIP_1) | instid1(VALU_DEP_2)
	v_add_co_u32 v177, vcc_lo, v2, v177
	s_wait_alu 0xfffd
	v_add_co_ci_u32_e32 v178, vcc_lo, v3, v178, vcc_lo
	global_store_b128 v[177:178], v[6:9], off
	v_mul_f64_e32 v[6:7], s[2:3], v[51:52]
	v_fma_f64 v[51:52], v[10:11], s[20:21], v[153:154]
	s_delay_alu instid0(VALU_DEP_2) | instskip(SKIP_2) | instid1(VALU_DEP_4)
	v_fma_f64 v[8:9], v[10:11], s[40:41], v[6:7]
	v_fma_f64 v[6:7], v[10:11], s[22:23], v[6:7]
	;; [unrolled: 1-line block ×3, first 2 shown]
	v_add_f64_e32 v[51:52], v[4:5], v[51:52]
	s_delay_alu instid0(VALU_DEP_4) | instskip(NEXT) | instid1(VALU_DEP_4)
	v_add_f64_e32 v[8:9], v[4:5], v[8:9]
	v_add_f64_e32 v[14:15], v[4:5], v[6:7]
	s_delay_alu instid0(VALU_DEP_4) | instskip(SKIP_3) | instid1(VALU_DEP_3)
	v_add_f64_e32 v[153:154], v[4:5], v[10:11]
	v_mul_f64_e32 v[4:5], s[40:41], v[43:44]
	v_fma_f64 v[10:11], v[12:13], s[6:7], v[161:162]
	v_fma_f64 v[43:44], v[12:13], s[18:19], v[137:138]
	v_fma_f64 v[6:7], v[12:13], s[2:3], -v[4:5]
	v_fma_f64 v[4:5], v[12:13], s[2:3], v[4:5]
	s_delay_alu instid0(VALU_DEP_4)
	v_add_f64_e32 v[137:138], v[0:1], v[10:11]
	v_mul_f64_e32 v[10:11], s[0:1], v[36:37]
	v_fma_f64 v[12:13], v[12:13], s[0:1], v[16:17]
	v_add_f64_e32 v[43:44], v[0:1], v[43:44]
	v_add_f64_e32 v[6:7], v[0:1], v[6:7]
	;; [unrolled: 1-line block ×3, first 2 shown]
	v_fma_f64 v[4:5], v[57:58], s[42:43], v[10:11]
	v_add_f64_e32 v[0:1], v[0:1], v[12:13]
	v_fma_f64 v[10:11], v[57:58], s[16:17], v[10:11]
	s_delay_alu instid0(VALU_DEP_3) | instskip(SKIP_1) | instid1(VALU_DEP_3)
	v_add_f64_e32 v[4:5], v[4:5], v[8:9]
	v_mul_f64_e32 v[8:9], s[42:43], v[49:50]
	v_add_f64_e32 v[10:11], v[10:11], v[14:15]
	v_fma_f64 v[14:15], v[47:48], s[14:15], v[38:39]
	v_fma_f64 v[49:50], v[22:23], s[18:19], v[119:120]
	s_delay_alu instid0(VALU_DEP_4) | instskip(SKIP_1) | instid1(VALU_DEP_2)
	v_fma_f64 v[12:13], v[20:21], s[0:1], -v[8:9]
	v_fma_f64 v[8:9], v[20:21], s[0:1], v[8:9]
	v_add_f64_e32 v[6:7], v[12:13], v[6:7]
	v_mul_f64_e32 v[12:13], s[6:7], v[24:25]
	s_delay_alu instid0(VALU_DEP_3) | instskip(SKIP_1) | instid1(VALU_DEP_3)
	v_add_f64_e32 v[8:9], v[8:9], v[16:17]
	v_fma_f64 v[16:17], v[55:56], s[24:25], v[165:166]
	v_fma_f64 v[24:25], v[55:56], s[30:31], v[12:13]
	;; [unrolled: 1-line block ×3, first 2 shown]
	s_delay_alu instid0(VALU_DEP_2) | instskip(SKIP_1) | instid1(VALU_DEP_3)
	v_add_f64_e32 v[4:5], v[24:25], v[4:5]
	v_mul_f64_e32 v[24:25], s[30:31], v[30:31]
	v_add_f64_e32 v[10:11], v[12:13], v[10:11]
	s_delay_alu instid0(VALU_DEP_2) | instskip(SKIP_2) | instid1(VALU_DEP_3)
	v_fma_f64 v[30:31], v[22:23], s[6:7], -v[24:25]
	v_fma_f64 v[12:13], v[22:23], s[6:7], v[24:25]
	v_fma_f64 v[24:25], v[55:56], s[16:17], v[141:142]
	v_add_f64_e32 v[6:7], v[30:31], v[6:7]
	v_mul_f64_e32 v[30:31], s[12:13], v[41:42]
	s_delay_alu instid0(VALU_DEP_4) | instskip(NEXT) | instid1(VALU_DEP_2)
	v_add_f64_e32 v[8:9], v[12:13], v[8:9]
	v_fma_f64 v[36:37], v[45:46], s[24:25], v[30:31]
	v_fma_f64 v[12:13], v[45:46], s[38:39], v[30:31]
	;; [unrolled: 1-line block ×3, first 2 shown]
	s_delay_alu instid0(VALU_DEP_3) | instskip(SKIP_1) | instid1(VALU_DEP_4)
	v_add_f64_e32 v[4:5], v[36:37], v[4:5]
	v_fma_f64 v[36:37], v[53:54], s[12:13], -v[18:19]
	v_add_f64_e32 v[10:11], v[12:13], v[10:11]
	v_fma_f64 v[12:13], v[53:54], s[12:13], v[18:19]
	v_fma_f64 v[18:19], v[47:48], s[18:19], v[181:182]
	v_add_f64_e32 v[30:31], v[30:31], v[113:114]
	v_add_f64_e32 v[6:7], v[36:37], v[6:7]
	v_mul_f64_e32 v[36:37], s[18:19], v[59:60]
	v_add_f64_e32 v[8:9], v[12:13], v[8:9]
	s_delay_alu instid0(VALU_DEP_4) | instskip(SKIP_1) | instid1(VALU_DEP_4)
	v_add_f64_e32 v[30:31], v[49:50], v[30:31]
	v_fma_f64 v[49:50], v[53:54], s[18:19], v[73:74]
	v_fma_f64 v[12:13], v[61:62], s[28:29], v[36:37]
	;; [unrolled: 1-line block ×4, first 2 shown]
	s_delay_alu instid0(VALU_DEP_3) | instskip(SKIP_1) | instid1(VALU_DEP_4)
	v_add_f64_e32 v[10:11], v[12:13], v[10:11]
	v_fma_f64 v[12:13], v[34:35], s[18:19], v[26:27]
	v_add_f64_e32 v[4:5], v[40:41], v[4:5]
	v_fma_f64 v[40:41], v[34:35], s[18:19], -v[26:27]
	v_fma_f64 v[26:27], v[47:48], s[12:13], v[157:158]
	v_add_f64_e32 v[36:37], v[36:37], v[87:88]
	v_add_f64_e32 v[8:9], v[12:13], v[8:9]
	v_fma_f64 v[12:13], v[32:33], s[26:27], v[28:29]
	v_add_f64_e32 v[40:41], v[40:41], v[6:7]
	v_fma_f64 v[6:7], v[32:33], s[34:35], v[28:29]
	v_fma_f64 v[28:29], v[57:58], s[24:25], v[63:64]
	v_add_f64_e32 v[8:9], v[14:15], v[8:9]
	v_add_f64_e32 v[10:11], v[12:13], v[10:11]
	v_fma_f64 v[12:13], v[57:58], s[26:27], v[159:160]
	v_fma_f64 v[14:15], v[20:21], s[14:15], v[163:164]
	v_add_f64_e32 v[6:7], v[6:7], v[4:5]
	v_fma_f64 v[4:5], v[47:48], s[14:15], -v[38:39]
	v_fma_f64 v[38:39], v[55:56], s[36:37], v[117:118]
	v_add_f64_e32 v[28:29], v[28:29], v[153:154]
	v_add_f64_e32 v[12:13], v[12:13], v[51:52]
	;; [unrolled: 1-line block ×3, first 2 shown]
	v_fma_f64 v[51:52], v[22:23], s[2:3], v[93:94]
	v_add_f64_e32 v[4:5], v[4:5], v[40:41]
	v_fma_f64 v[40:41], v[55:56], s[22:23], v[91:92]
	v_add_f64_e32 v[12:13], v[16:17], v[12:13]
	;; [unrolled: 2-line block ×3, first 2 shown]
	v_fma_f64 v[51:52], v[61:62], s[20:21], v[75:76]
	s_delay_alu instid0(VALU_DEP_3) | instskip(SKIP_1) | instid1(VALU_DEP_1)
	v_add_f64_e32 v[14:15], v[16:17], v[14:15]
	v_fma_f64 v[16:17], v[45:46], s[40:41], v[169:170]
	v_add_f64_e32 v[12:13], v[16:17], v[12:13]
	v_fma_f64 v[16:17], v[53:54], s[2:3], v[171:172]
	s_delay_alu instid0(VALU_DEP_1) | instskip(SKIP_1) | instid1(VALU_DEP_1)
	v_add_f64_e32 v[14:15], v[16:17], v[14:15]
	v_fma_f64 v[16:17], v[61:62], s[16:17], v[173:174]
	v_add_f64_e32 v[12:13], v[16:17], v[12:13]
	v_fma_f64 v[16:17], v[34:35], s[0:1], v[175:176]
	s_delay_alu instid0(VALU_DEP_1) | instskip(SKIP_1) | instid1(VALU_DEP_1)
	v_add_f64_e32 v[16:17], v[16:17], v[14:15]
	v_fma_f64 v[14:15], v[32:33], s[28:29], v[179:180]
	v_add_f64_e32 v[14:15], v[14:15], v[12:13]
	s_delay_alu instid0(VALU_DEP_3) | instskip(SKIP_3) | instid1(VALU_DEP_3)
	v_add_f64_e32 v[12:13], v[18:19], v[16:17]
	v_fma_f64 v[16:17], v[57:58], s[30:31], v[135:136]
	v_fma_f64 v[18:19], v[20:21], s[6:7], v[139:140]
	;; [unrolled: 1-line block ×3, first 2 shown]
	v_add_f64_e32 v[16:17], v[16:17], v[129:130]
	s_delay_alu instid0(VALU_DEP_3) | instskip(SKIP_1) | instid1(VALU_DEP_4)
	v_add_f64_e32 v[18:19], v[18:19], v[43:44]
	v_fma_f64 v[42:43], v[55:56], s[34:35], v[67:68]
	v_add_f64_e32 v[0:1], v[20:21], v[0:1]
	v_fma_f64 v[20:21], v[45:46], s[16:17], v[121:122]
	v_fma_f64 v[55:56], v[45:46], s[30:31], v[95:96]
	v_add_f64_e32 v[16:17], v[24:25], v[16:17]
	v_fma_f64 v[24:25], v[22:23], s[0:1], v[143:144]
	;; [unrolled: 3-line block ×3, first 2 shown]
	s_delay_alu instid0(VALU_DEP_4)
	v_add_f64_e32 v[18:19], v[24:25], v[18:19]
	v_fma_f64 v[24:25], v[45:46], s[34:35], v[145:146]
	v_fma_f64 v[44:45], v[45:46], s[28:29], v[71:72]
	v_add_f64_e32 v[0:1], v[22:23], v[0:1]
	v_fma_f64 v[22:23], v[61:62], s[24:25], v[125:126]
	v_add_nc_u32_e32 v46, 0x3f6, v100
	v_add_f64_e32 v[16:17], v[24:25], v[16:17]
	v_fma_f64 v[24:25], v[53:54], s[14:15], v[147:148]
	v_add_f64_e32 v[28:29], v[44:45], v[28:29]
	v_add_f64_e32 v[0:1], v[49:50], v[0:1]
	v_fma_f64 v[44:45], v[32:33], s[16:17], v[107:108]
	s_delay_alu instid0(VALU_DEP_4) | instskip(SKIP_2) | instid1(VALU_DEP_2)
	v_add_f64_e32 v[18:19], v[24:25], v[18:19]
	v_fma_f64 v[24:25], v[61:62], s[40:41], v[149:150]
	v_add_f64_e32 v[28:29], v[51:52], v[28:29]
	v_add_f64_e32 v[16:17], v[24:25], v[16:17]
	v_fma_f64 v[24:25], v[34:35], s[2:3], v[151:152]
	s_delay_alu instid0(VALU_DEP_1) | instskip(SKIP_1) | instid1(VALU_DEP_1)
	v_add_f64_e32 v[24:25], v[24:25], v[18:19]
	v_fma_f64 v[18:19], v[32:33], s[38:39], v[155:156]
	v_add_f64_e32 v[18:19], v[18:19], v[16:17]
	s_delay_alu instid0(VALU_DEP_3) | instskip(SKIP_2) | instid1(VALU_DEP_2)
	v_add_f64_e32 v[16:17], v[26:27], v[24:25]
	v_fma_f64 v[24:25], v[57:58], s[22:23], v[111:112]
	v_fma_f64 v[26:27], v[57:58], s[28:29], v[85:86]
	v_add_f64_e32 v[24:25], v[24:25], v[105:106]
	s_delay_alu instid0(VALU_DEP_2) | instskip(NEXT) | instid1(VALU_DEP_2)
	v_add_f64_e32 v[26:27], v[26:27], v[79:80]
	v_add_f64_e32 v[24:25], v[38:39], v[24:25]
	s_delay_alu instid0(VALU_DEP_2) | instskip(SKIP_2) | instid1(VALU_DEP_4)
	v_add_f64_e32 v[26:27], v[40:41], v[26:27]
	v_fma_f64 v[38:39], v[53:54], s[0:1], v[123:124]
	v_fma_f64 v[40:41], v[53:54], s[6:7], v[97:98]
	v_add_f64_e32 v[20:21], v[20:21], v[24:25]
	s_delay_alu instid0(VALU_DEP_4) | instskip(NEXT) | instid1(VALU_DEP_4)
	v_add_f64_e32 v[26:27], v[55:56], v[26:27]
	v_add_f64_e32 v[24:25], v[38:39], v[30:31]
	s_delay_alu instid0(VALU_DEP_4)
	v_add_f64_e32 v[30:31], v[40:41], v[36:37]
	v_fma_f64 v[36:37], v[34:35], s[12:13], v[127:128]
	v_fma_f64 v[38:39], v[34:35], s[14:15], v[103:104]
	;; [unrolled: 1-line block ×5, first 2 shown]
	v_add_f64_e32 v[20:21], v[22:23], v[20:21]
	v_add_f64_e32 v[26:27], v[42:43], v[26:27]
	v_fma_f64 v[42:43], v[47:48], s[2:3], v[83:84]
	v_add_f64_e32 v[24:25], v[36:37], v[24:25]
	v_fma_f64 v[36:37], v[47:48], s[6:7], v[133:134]
	;; [unrolled: 2-line block ×3, first 2 shown]
	v_add_f64_e32 v[0:1], v[34:35], v[0:1]
	v_mad_co_u64_u32 v[34:35], null, s8, v46, 0
	v_add_f64_e32 v[22:23], v[40:41], v[20:21]
	v_add_nc_u32_e32 v40, 0x49f, v100
	v_add_nc_u32_e32 v41, 0x548, v100
	v_add_f64_e32 v[26:27], v[44:45], v[26:27]
	v_add_nc_u32_e32 v44, 0x7ec, v100
	v_add_f64_e32 v[20:21], v[36:37], v[24:25]
	v_mad_co_u64_u32 v[36:37], null, s8, v40, 0
	v_add_f64_e32 v[24:25], v[38:39], v[30:31]
	v_mad_co_u64_u32 v[38:39], null, s8, v41, 0
	v_add_f64_e32 v[30:31], v[32:33], v[28:29]
	v_add_f64_e32 v[28:29], v[42:43], v[0:1]
	v_dual_mov_b32 v0, v35 :: v_dual_mov_b32 v1, v37
	v_add_nc_u32_e32 v42, 0x743, v100
	s_delay_alu instid0(VALU_DEP_2) | instskip(SKIP_2) | instid1(VALU_DEP_3)
	v_mad_co_u64_u32 v[32:33], null, s9, v46, v[0:1]
	v_mad_co_u64_u32 v[0:1], null, s9, v40, v[1:2]
	v_mov_b32_e32 v1, v39
	v_mov_b32_e32 v35, v32
	s_delay_alu instid0(VALU_DEP_2) | instskip(SKIP_2) | instid1(VALU_DEP_4)
	v_mad_co_u64_u32 v[39:40], null, s9, v41, v[1:2]
	v_add_nc_u32_e32 v1, 0x5f1, v100
	v_mov_b32_e32 v37, v0
	v_lshlrev_b64_e32 v[34:35], 4, v[34:35]
	s_delay_alu instid0(VALU_DEP_3) | instskip(NEXT) | instid1(VALU_DEP_3)
	v_mad_co_u64_u32 v[32:33], null, s8, v1, 0
	v_lshlrev_b64_e32 v[36:37], 4, v[36:37]
	s_delay_alu instid0(VALU_DEP_3)
	v_add_co_u32 v34, vcc_lo, v2, v34
	v_lshlrev_b64_e32 v[38:39], 4, v[38:39]
	s_wait_alu 0xfffd
	v_add_co_ci_u32_e32 v35, vcc_lo, v3, v35, vcc_lo
	v_mov_b32_e32 v0, v33
	v_add_co_u32 v36, vcc_lo, v2, v36
	s_wait_alu 0xfffd
	v_add_co_ci_u32_e32 v37, vcc_lo, v3, v37, vcc_lo
	s_delay_alu instid0(VALU_DEP_3) | instskip(SKIP_4) | instid1(VALU_DEP_3)
	v_mad_co_u64_u32 v[0:1], null, s9, v1, v[0:1]
	v_add_nc_u32_e32 v1, 0x69a, v100
	v_add_co_u32 v38, vcc_lo, v2, v38
	s_wait_alu 0xfffd
	v_add_co_ci_u32_e32 v39, vcc_lo, v3, v39, vcc_lo
	v_mad_co_u64_u32 v[40:41], null, s8, v1, 0
	v_mov_b32_e32 v33, v0
	s_delay_alu instid0(VALU_DEP_1) | instskip(NEXT) | instid1(VALU_DEP_3)
	v_lshlrev_b64_e32 v[32:33], 4, v[32:33]
	v_mov_b32_e32 v0, v41
	s_delay_alu instid0(VALU_DEP_1) | instskip(NEXT) | instid1(VALU_DEP_3)
	v_mad_co_u64_u32 v[0:1], null, s9, v1, v[0:1]
	v_add_co_u32 v32, vcc_lo, v2, v32
	s_wait_alu 0xfffd
	s_delay_alu instid0(VALU_DEP_4) | instskip(NEXT) | instid1(VALU_DEP_3)
	v_add_co_ci_u32_e32 v33, vcc_lo, v3, v33, vcc_lo
	v_mov_b32_e32 v41, v0
	v_mad_co_u64_u32 v[0:1], null, s8, v42, 0
	s_delay_alu instid0(VALU_DEP_2) | instskip(NEXT) | instid1(VALU_DEP_2)
	v_lshlrev_b64_e32 v[40:41], 4, v[40:41]
	v_mad_co_u64_u32 v[42:43], null, s9, v42, v[1:2]
	s_delay_alu instid0(VALU_DEP_2) | instskip(SKIP_1) | instid1(VALU_DEP_3)
	v_add_co_u32 v40, vcc_lo, v2, v40
	s_wait_alu 0xfffd
	v_add_co_ci_u32_e32 v41, vcc_lo, v3, v41, vcc_lo
	s_delay_alu instid0(VALU_DEP_3) | instskip(SKIP_1) | instid1(VALU_DEP_2)
	v_mov_b32_e32 v1, v42
	v_mad_co_u64_u32 v[42:43], null, s8, v44, 0
	v_lshlrev_b64_e32 v[0:1], 4, v[0:1]
	s_delay_alu instid0(VALU_DEP_2) | instskip(NEXT) | instid1(VALU_DEP_2)
	v_mad_co_u64_u32 v[43:44], null, s9, v44, v[43:44]
	v_add_co_u32 v0, vcc_lo, v2, v0
	s_wait_alu 0xfffd
	s_delay_alu instid0(VALU_DEP_3) | instskip(NEXT) | instid1(VALU_DEP_3)
	v_add_co_ci_u32_e32 v1, vcc_lo, v3, v1, vcc_lo
	v_lshlrev_b64_e32 v[42:43], 4, v[42:43]
	s_delay_alu instid0(VALU_DEP_1) | instskip(SKIP_1) | instid1(VALU_DEP_2)
	v_add_co_u32 v2, vcc_lo, v2, v42
	s_wait_alu 0xfffd
	v_add_co_ci_u32_e32 v3, vcc_lo, v3, v43, vcc_lo
	s_clause 0x6
	global_store_b128 v[34:35], v[4:7], off
	global_store_b128 v[36:37], v[8:11], off
	;; [unrolled: 1-line block ×7, first 2 shown]
.LBB0_13:
	s_nop 0
	s_sendmsg sendmsg(MSG_DEALLOC_VGPRS)
	s_endpgm
	.section	.rodata,"a",@progbits
	.p2align	6, 0x0
	.amdhsa_kernel fft_rtc_fwd_len2197_factors_13_13_13_wgs_169_tpt_169_halfLds_dp_ip_CI_sbrr_dirReg
		.amdhsa_group_segment_fixed_size 0
		.amdhsa_private_segment_fixed_size 0
		.amdhsa_kernarg_size 88
		.amdhsa_user_sgpr_count 2
		.amdhsa_user_sgpr_dispatch_ptr 0
		.amdhsa_user_sgpr_queue_ptr 0
		.amdhsa_user_sgpr_kernarg_segment_ptr 1
		.amdhsa_user_sgpr_dispatch_id 0
		.amdhsa_user_sgpr_private_segment_size 0
		.amdhsa_wavefront_size32 1
		.amdhsa_uses_dynamic_stack 0
		.amdhsa_enable_private_segment 0
		.amdhsa_system_sgpr_workgroup_id_x 1
		.amdhsa_system_sgpr_workgroup_id_y 0
		.amdhsa_system_sgpr_workgroup_id_z 0
		.amdhsa_system_sgpr_workgroup_info 0
		.amdhsa_system_vgpr_workitem_id 0
		.amdhsa_next_free_vgpr 185
		.amdhsa_next_free_sgpr 44
		.amdhsa_reserve_vcc 1
		.amdhsa_float_round_mode_32 0
		.amdhsa_float_round_mode_16_64 0
		.amdhsa_float_denorm_mode_32 3
		.amdhsa_float_denorm_mode_16_64 3
		.amdhsa_fp16_overflow 0
		.amdhsa_workgroup_processor_mode 1
		.amdhsa_memory_ordered 1
		.amdhsa_forward_progress 0
		.amdhsa_round_robin_scheduling 0
		.amdhsa_exception_fp_ieee_invalid_op 0
		.amdhsa_exception_fp_denorm_src 0
		.amdhsa_exception_fp_ieee_div_zero 0
		.amdhsa_exception_fp_ieee_overflow 0
		.amdhsa_exception_fp_ieee_underflow 0
		.amdhsa_exception_fp_ieee_inexact 0
		.amdhsa_exception_int_div_zero 0
	.end_amdhsa_kernel
	.text
.Lfunc_end0:
	.size	fft_rtc_fwd_len2197_factors_13_13_13_wgs_169_tpt_169_halfLds_dp_ip_CI_sbrr_dirReg, .Lfunc_end0-fft_rtc_fwd_len2197_factors_13_13_13_wgs_169_tpt_169_halfLds_dp_ip_CI_sbrr_dirReg
                                        ; -- End function
	.section	.AMDGPU.csdata,"",@progbits
; Kernel info:
; codeLenInByte = 13240
; NumSgprs: 46
; NumVgprs: 185
; ScratchSize: 0
; MemoryBound: 1
; FloatMode: 240
; IeeeMode: 1
; LDSByteSize: 0 bytes/workgroup (compile time only)
; SGPRBlocks: 5
; VGPRBlocks: 23
; NumSGPRsForWavesPerEU: 46
; NumVGPRsForWavesPerEU: 185
; Occupancy: 8
; WaveLimiterHint : 1
; COMPUTE_PGM_RSRC2:SCRATCH_EN: 0
; COMPUTE_PGM_RSRC2:USER_SGPR: 2
; COMPUTE_PGM_RSRC2:TRAP_HANDLER: 0
; COMPUTE_PGM_RSRC2:TGID_X_EN: 1
; COMPUTE_PGM_RSRC2:TGID_Y_EN: 0
; COMPUTE_PGM_RSRC2:TGID_Z_EN: 0
; COMPUTE_PGM_RSRC2:TIDIG_COMP_CNT: 0
	.text
	.p2alignl 7, 3214868480
	.fill 96, 4, 3214868480
	.type	__hip_cuid_8d8f72f4c9f7211b,@object ; @__hip_cuid_8d8f72f4c9f7211b
	.section	.bss,"aw",@nobits
	.globl	__hip_cuid_8d8f72f4c9f7211b
__hip_cuid_8d8f72f4c9f7211b:
	.byte	0                               ; 0x0
	.size	__hip_cuid_8d8f72f4c9f7211b, 1

	.ident	"AMD clang version 19.0.0git (https://github.com/RadeonOpenCompute/llvm-project roc-6.4.0 25133 c7fe45cf4b819c5991fe208aaa96edf142730f1d)"
	.section	".note.GNU-stack","",@progbits
	.addrsig
	.addrsig_sym __hip_cuid_8d8f72f4c9f7211b
	.amdgpu_metadata
---
amdhsa.kernels:
  - .args:
      - .actual_access:  read_only
        .address_space:  global
        .offset:         0
        .size:           8
        .value_kind:     global_buffer
      - .offset:         8
        .size:           8
        .value_kind:     by_value
      - .actual_access:  read_only
        .address_space:  global
        .offset:         16
        .size:           8
        .value_kind:     global_buffer
      - .actual_access:  read_only
        .address_space:  global
        .offset:         24
        .size:           8
        .value_kind:     global_buffer
      - .offset:         32
        .size:           8
        .value_kind:     by_value
      - .actual_access:  read_only
        .address_space:  global
        .offset:         40
        .size:           8
        .value_kind:     global_buffer
      - .actual_access:  read_only
        .address_space:  global
        .offset:         48
        .size:           8
        .value_kind:     global_buffer
      - .offset:         56
        .size:           4
        .value_kind:     by_value
      - .actual_access:  read_only
        .address_space:  global
        .offset:         64
        .size:           8
        .value_kind:     global_buffer
      - .actual_access:  read_only
        .address_space:  global
        .offset:         72
        .size:           8
        .value_kind:     global_buffer
      - .address_space:  global
        .offset:         80
        .size:           8
        .value_kind:     global_buffer
    .group_segment_fixed_size: 0
    .kernarg_segment_align: 8
    .kernarg_segment_size: 88
    .language:       OpenCL C
    .language_version:
      - 2
      - 0
    .max_flat_workgroup_size: 169
    .name:           fft_rtc_fwd_len2197_factors_13_13_13_wgs_169_tpt_169_halfLds_dp_ip_CI_sbrr_dirReg
    .private_segment_fixed_size: 0
    .sgpr_count:     46
    .sgpr_spill_count: 0
    .symbol:         fft_rtc_fwd_len2197_factors_13_13_13_wgs_169_tpt_169_halfLds_dp_ip_CI_sbrr_dirReg.kd
    .uniform_work_group_size: 1
    .uses_dynamic_stack: false
    .vgpr_count:     185
    .vgpr_spill_count: 0
    .wavefront_size: 32
    .workgroup_processor_mode: 1
amdhsa.target:   amdgcn-amd-amdhsa--gfx1201
amdhsa.version:
  - 1
  - 2
...

	.end_amdgpu_metadata
